;; amdgpu-corpus repo=ROCm/rocFFT kind=compiled arch=gfx906 opt=O3
	.text
	.amdgcn_target "amdgcn-amd-amdhsa--gfx906"
	.amdhsa_code_object_version 6
	.protected	fft_rtc_fwd_len1920_factors_10_6_16_2_wgs_240_tpt_120_halfLds_sp_op_CI_CI_sbrr_dirReg ; -- Begin function fft_rtc_fwd_len1920_factors_10_6_16_2_wgs_240_tpt_120_halfLds_sp_op_CI_CI_sbrr_dirReg
	.globl	fft_rtc_fwd_len1920_factors_10_6_16_2_wgs_240_tpt_120_halfLds_sp_op_CI_CI_sbrr_dirReg
	.p2align	8
	.type	fft_rtc_fwd_len1920_factors_10_6_16_2_wgs_240_tpt_120_halfLds_sp_op_CI_CI_sbrr_dirReg,@function
fft_rtc_fwd_len1920_factors_10_6_16_2_wgs_240_tpt_120_halfLds_sp_op_CI_CI_sbrr_dirReg: ; @fft_rtc_fwd_len1920_factors_10_6_16_2_wgs_240_tpt_120_halfLds_sp_op_CI_CI_sbrr_dirReg
; %bb.0:
	s_load_dwordx4 s[16:19], s[4:5], 0x18
	s_load_dwordx4 s[12:15], s[4:5], 0x0
	;; [unrolled: 1-line block ×3, first 2 shown]
	v_mul_u32_u24_e32 v1, 0x223, v0
	v_lshrrev_b32_e32 v49, 16, v1
	s_waitcnt lgkmcnt(0)
	s_load_dwordx2 s[2:3], s[16:17], 0x0
	s_load_dwordx2 s[20:21], s[18:19], 0x0
	v_cmp_lt_u64_e64 s[0:1], s[14:15], 2
	v_mov_b32_e32 v3, 0
	v_mov_b32_e32 v47, 0
	v_lshl_add_u32 v7, s6, 1, v49
	v_mov_b32_e32 v8, v3
	s_and_b64 vcc, exec, s[0:1]
	v_mov_b32_e32 v48, 0
	s_cbranch_vccnz .LBB0_8
; %bb.1:
	s_load_dwordx2 s[0:1], s[4:5], 0x10
	s_add_u32 s6, s18, 8
	s_addc_u32 s7, s19, 0
	s_add_u32 s22, s16, 8
	s_addc_u32 s23, s17, 0
	v_mov_b32_e32 v47, 0
	s_waitcnt lgkmcnt(0)
	s_add_u32 s24, s0, 8
	v_mov_b32_e32 v48, 0
	v_mov_b32_e32 v1, v47
	s_addc_u32 s25, s1, 0
	s_mov_b64 s[26:27], 1
	v_mov_b32_e32 v2, v48
.LBB0_2:                                ; =>This Inner Loop Header: Depth=1
	s_load_dwordx2 s[28:29], s[24:25], 0x0
                                        ; implicit-def: $vgpr5_vgpr6
	s_waitcnt lgkmcnt(0)
	v_or_b32_e32 v4, s29, v8
	v_cmp_ne_u64_e32 vcc, 0, v[3:4]
	s_and_saveexec_b64 s[0:1], vcc
	s_xor_b64 s[30:31], exec, s[0:1]
	s_cbranch_execz .LBB0_4
; %bb.3:                                ;   in Loop: Header=BB0_2 Depth=1
	v_cvt_f32_u32_e32 v4, s28
	v_cvt_f32_u32_e32 v5, s29
	s_sub_u32 s0, 0, s28
	s_subb_u32 s1, 0, s29
	v_mac_f32_e32 v4, 0x4f800000, v5
	v_rcp_f32_e32 v4, v4
	v_mul_f32_e32 v4, 0x5f7ffffc, v4
	v_mul_f32_e32 v5, 0x2f800000, v4
	v_trunc_f32_e32 v5, v5
	v_mac_f32_e32 v4, 0xcf800000, v5
	v_cvt_u32_f32_e32 v5, v5
	v_cvt_u32_f32_e32 v4, v4
	v_mul_lo_u32 v6, s0, v5
	v_mul_hi_u32 v9, s0, v4
	v_mul_lo_u32 v11, s1, v4
	v_mul_lo_u32 v10, s0, v4
	v_add_u32_e32 v6, v9, v6
	v_add_u32_e32 v6, v6, v11
	v_mul_hi_u32 v9, v4, v10
	v_mul_lo_u32 v11, v4, v6
	v_mul_hi_u32 v13, v4, v6
	v_mul_hi_u32 v12, v5, v10
	v_mul_lo_u32 v10, v5, v10
	v_mul_hi_u32 v14, v5, v6
	v_add_co_u32_e32 v9, vcc, v9, v11
	v_addc_co_u32_e32 v11, vcc, 0, v13, vcc
	v_mul_lo_u32 v6, v5, v6
	v_add_co_u32_e32 v9, vcc, v9, v10
	v_addc_co_u32_e32 v9, vcc, v11, v12, vcc
	v_addc_co_u32_e32 v10, vcc, 0, v14, vcc
	v_add_co_u32_e32 v6, vcc, v9, v6
	v_addc_co_u32_e32 v9, vcc, 0, v10, vcc
	v_add_co_u32_e32 v4, vcc, v4, v6
	v_addc_co_u32_e32 v5, vcc, v5, v9, vcc
	v_mul_lo_u32 v6, s0, v5
	v_mul_hi_u32 v9, s0, v4
	v_mul_lo_u32 v10, s1, v4
	v_mul_lo_u32 v11, s0, v4
	v_add_u32_e32 v6, v9, v6
	v_add_u32_e32 v6, v6, v10
	v_mul_lo_u32 v12, v4, v6
	v_mul_hi_u32 v13, v4, v11
	v_mul_hi_u32 v14, v4, v6
	;; [unrolled: 1-line block ×3, first 2 shown]
	v_mul_lo_u32 v11, v5, v11
	v_mul_hi_u32 v9, v5, v6
	v_add_co_u32_e32 v12, vcc, v13, v12
	v_addc_co_u32_e32 v13, vcc, 0, v14, vcc
	v_mul_lo_u32 v6, v5, v6
	v_add_co_u32_e32 v11, vcc, v12, v11
	v_addc_co_u32_e32 v10, vcc, v13, v10, vcc
	v_addc_co_u32_e32 v9, vcc, 0, v9, vcc
	v_add_co_u32_e32 v6, vcc, v10, v6
	v_addc_co_u32_e32 v9, vcc, 0, v9, vcc
	v_add_co_u32_e32 v6, vcc, v4, v6
	v_addc_co_u32_e32 v9, vcc, v5, v9, vcc
	v_mad_u64_u32 v[4:5], s[0:1], v7, v9, 0
	v_mul_hi_u32 v10, v7, v6
	v_add_co_u32_e32 v11, vcc, v10, v4
	v_addc_co_u32_e32 v12, vcc, 0, v5, vcc
	v_mad_u64_u32 v[4:5], s[0:1], v8, v6, 0
	v_mad_u64_u32 v[9:10], s[0:1], v8, v9, 0
	v_add_co_u32_e32 v4, vcc, v11, v4
	v_addc_co_u32_e32 v4, vcc, v12, v5, vcc
	v_addc_co_u32_e32 v5, vcc, 0, v10, vcc
	v_add_co_u32_e32 v9, vcc, v4, v9
	v_addc_co_u32_e32 v6, vcc, 0, v5, vcc
	v_mul_lo_u32 v10, s29, v9
	v_mul_lo_u32 v11, s28, v6
	v_mad_u64_u32 v[4:5], s[0:1], s28, v9, 0
	v_add3_u32 v5, v5, v11, v10
	v_sub_u32_e32 v10, v8, v5
	v_mov_b32_e32 v11, s29
	v_sub_co_u32_e32 v4, vcc, v7, v4
	v_subb_co_u32_e64 v10, s[0:1], v10, v11, vcc
	v_subrev_co_u32_e64 v11, s[0:1], s28, v4
	v_subbrev_co_u32_e64 v10, s[0:1], 0, v10, s[0:1]
	v_cmp_le_u32_e64 s[0:1], s29, v10
	v_cndmask_b32_e64 v12, 0, -1, s[0:1]
	v_cmp_le_u32_e64 s[0:1], s28, v11
	v_cndmask_b32_e64 v11, 0, -1, s[0:1]
	v_cmp_eq_u32_e64 s[0:1], s29, v10
	v_cndmask_b32_e64 v10, v12, v11, s[0:1]
	v_add_co_u32_e64 v11, s[0:1], 2, v9
	v_addc_co_u32_e64 v12, s[0:1], 0, v6, s[0:1]
	v_add_co_u32_e64 v13, s[0:1], 1, v9
	v_addc_co_u32_e64 v14, s[0:1], 0, v6, s[0:1]
	v_subb_co_u32_e32 v5, vcc, v8, v5, vcc
	v_cmp_ne_u32_e64 s[0:1], 0, v10
	v_cmp_le_u32_e32 vcc, s29, v5
	v_cndmask_b32_e64 v10, v14, v12, s[0:1]
	v_cndmask_b32_e64 v12, 0, -1, vcc
	v_cmp_le_u32_e32 vcc, s28, v4
	v_cndmask_b32_e64 v4, 0, -1, vcc
	v_cmp_eq_u32_e32 vcc, s29, v5
	v_cndmask_b32_e32 v4, v12, v4, vcc
	v_cmp_ne_u32_e32 vcc, 0, v4
	v_cndmask_b32_e64 v4, v13, v11, s[0:1]
	v_cndmask_b32_e32 v6, v6, v10, vcc
	v_cndmask_b32_e32 v5, v9, v4, vcc
.LBB0_4:                                ;   in Loop: Header=BB0_2 Depth=1
	s_andn2_saveexec_b64 s[0:1], s[30:31]
	s_cbranch_execz .LBB0_6
; %bb.5:                                ;   in Loop: Header=BB0_2 Depth=1
	v_cvt_f32_u32_e32 v4, s28
	s_sub_i32 s30, 0, s28
	v_rcp_iflag_f32_e32 v4, v4
	v_mul_f32_e32 v4, 0x4f7ffffe, v4
	v_cvt_u32_f32_e32 v4, v4
	v_mul_lo_u32 v5, s30, v4
	v_mul_hi_u32 v5, v4, v5
	v_add_u32_e32 v4, v4, v5
	v_mul_hi_u32 v4, v7, v4
	v_mul_lo_u32 v5, v4, s28
	v_add_u32_e32 v6, 1, v4
	v_sub_u32_e32 v5, v7, v5
	v_subrev_u32_e32 v9, s28, v5
	v_cmp_le_u32_e32 vcc, s28, v5
	v_cndmask_b32_e32 v5, v5, v9, vcc
	v_cndmask_b32_e32 v4, v4, v6, vcc
	v_add_u32_e32 v6, 1, v4
	v_cmp_le_u32_e32 vcc, s28, v5
	v_cndmask_b32_e32 v5, v4, v6, vcc
	v_mov_b32_e32 v6, v3
.LBB0_6:                                ;   in Loop: Header=BB0_2 Depth=1
	s_or_b64 exec, exec, s[0:1]
	v_mul_lo_u32 v4, v6, s28
	v_mul_lo_u32 v11, v5, s29
	v_mad_u64_u32 v[9:10], s[0:1], v5, s28, 0
	s_load_dwordx2 s[0:1], s[22:23], 0x0
	s_load_dwordx2 s[28:29], s[6:7], 0x0
	v_add3_u32 v4, v10, v11, v4
	v_sub_co_u32_e32 v7, vcc, v7, v9
	v_subb_co_u32_e32 v4, vcc, v8, v4, vcc
	s_waitcnt lgkmcnt(0)
	v_mul_lo_u32 v8, s0, v4
	v_mul_lo_u32 v9, s1, v7
	v_mad_u64_u32 v[47:48], s[0:1], s0, v7, v[47:48]
	s_add_u32 s26, s26, 1
	s_addc_u32 s27, s27, 0
	s_add_u32 s6, s6, 8
	v_mul_lo_u32 v4, s28, v4
	v_mul_lo_u32 v10, s29, v7
	v_mad_u64_u32 v[1:2], s[0:1], s28, v7, v[1:2]
	v_add3_u32 v48, v9, v48, v8
	s_addc_u32 s7, s7, 0
	v_mov_b32_e32 v7, s14
	s_add_u32 s22, s22, 8
	v_mov_b32_e32 v8, s15
	s_addc_u32 s23, s23, 0
	v_cmp_ge_u64_e32 vcc, s[26:27], v[7:8]
	s_add_u32 s24, s24, 8
	v_add3_u32 v2, v10, v2, v4
	s_addc_u32 s25, s25, 0
	s_cbranch_vccnz .LBB0_9
; %bb.7:                                ;   in Loop: Header=BB0_2 Depth=1
	v_mov_b32_e32 v8, v6
	v_mov_b32_e32 v7, v5
	s_branch .LBB0_2
.LBB0_8:
	v_mov_b32_e32 v1, v47
	v_mov_b32_e32 v5, v7
	;; [unrolled: 1-line block ×4, first 2 shown]
.LBB0_9:
	s_load_dwordx2 s[0:1], s[4:5], 0x28
	s_lshl_b64 s[14:15], s[14:15], 3
	s_add_u32 s4, s18, s14
	s_addc_u32 s5, s19, s15
                                        ; implicit-def: $vgpr3
	s_waitcnt lgkmcnt(0)
	v_cmp_gt_u64_e32 vcc, s[0:1], v[5:6]
	v_cmp_le_u64_e64 s[0:1], s[0:1], v[5:6]
	s_and_saveexec_b64 s[6:7], s[0:1]
	s_xor_b64 s[0:1], exec, s[6:7]
; %bb.10:
	s_mov_b32 s6, 0x2222223
	v_mul_hi_u32 v3, v0, s6
                                        ; implicit-def: $vgpr47_vgpr48
	v_mul_u32_u24_e32 v3, 0x78, v3
	v_sub_u32_e32 v3, v0, v3
                                        ; implicit-def: $vgpr0
; %bb.11:
	s_or_saveexec_b64 s[6:7], s[0:1]
	s_load_dwordx2 s[4:5], s[4:5], 0x0
                                        ; implicit-def: $vgpr8
                                        ; implicit-def: $vgpr10
                                        ; implicit-def: $vgpr18
                                        ; implicit-def: $vgpr12
                                        ; implicit-def: $vgpr20
                                        ; implicit-def: $vgpr14
                                        ; implicit-def: $vgpr22
                                        ; implicit-def: $vgpr16
                                        ; implicit-def: $vgpr28
                                        ; implicit-def: $vgpr24
                                        ; implicit-def: $vgpr26
                                        ; implicit-def: $vgpr30
                                        ; implicit-def: $vgpr34
                                        ; implicit-def: $vgpr32
                                        ; implicit-def: $vgpr42
                                        ; implicit-def: $vgpr44
                                        ; implicit-def: $vgpr46
                                        ; implicit-def: $vgpr38
                                        ; implicit-def: $vgpr40
                                        ; implicit-def: $vgpr36
	s_xor_b64 exec, exec, s[6:7]
	s_cbranch_execz .LBB0_15
; %bb.12:
	s_add_u32 s0, s16, s14
	s_mov_b32 s14, 0x2222223
	v_mul_hi_u32 v3, v0, s14
	s_addc_u32 s1, s17, s15
	s_load_dwordx2 s[0:1], s[0:1], 0x0
                                        ; implicit-def: $vgpr45
	v_mul_u32_u24_e32 v3, 0x78, v3
	v_sub_u32_e32 v3, v0, v3
	v_mad_u64_u32 v[7:8], s[14:15], s2, v3, 0
	s_waitcnt lgkmcnt(0)
	v_mul_lo_u32 v4, s1, v5
	v_mul_lo_u32 v13, s0, v6
	v_mad_u64_u32 v[9:10], s[0:1], s0, v5, 0
	v_mov_b32_e32 v0, v8
	v_mad_u64_u32 v[11:12], s[0:1], s3, v3, v[0:1]
	v_add3_u32 v10, v10, v13, v4
	v_lshlrev_b64 v[9:10], 3, v[9:10]
	v_mov_b32_e32 v0, s9
	v_add_co_u32_e64 v4, s[0:1], s8, v9
	v_add_u32_e32 v14, 0xc0, v3
	v_mov_b32_e32 v8, v11
	v_addc_co_u32_e64 v13, s[0:1], v0, v10, s[0:1]
	v_mad_u64_u32 v[11:12], s[0:1], s2, v14, 0
	v_lshlrev_b64 v[9:10], 3, v[47:48]
	v_lshlrev_b64 v[7:8], 3, v[7:8]
	v_add_co_u32_e64 v0, s[0:1], v4, v9
	v_mov_b32_e32 v9, v12
	v_addc_co_u32_e64 v4, s[0:1], v13, v10, s[0:1]
	v_mad_u64_u32 v[9:10], s[0:1], s3, v14, v[9:10]
	v_or_b32_e32 v10, 0x180, v3
	v_mad_u64_u32 v[13:14], s[0:1], s2, v10, 0
	v_add_co_u32_e64 v23, s[0:1], v0, v7
	v_mov_b32_e32 v12, v9
	v_mov_b32_e32 v9, v14
	v_addc_co_u32_e64 v24, s[0:1], v4, v8, s[0:1]
	v_lshlrev_b64 v[7:8], 3, v[11:12]
	v_mad_u64_u32 v[9:10], s[0:1], s3, v10, v[9:10]
	v_add_u32_e32 v12, 0x240, v3
	v_mad_u64_u32 v[10:11], s[0:1], s2, v12, 0
	v_add_co_u32_e64 v25, s[0:1], v0, v7
	v_mov_b32_e32 v14, v9
	v_mov_b32_e32 v9, v11
	v_addc_co_u32_e64 v26, s[0:1], v4, v8, s[0:1]
	v_lshlrev_b64 v[7:8], 3, v[13:14]
	v_mad_u64_u32 v[11:12], s[0:1], s3, v12, v[9:10]
	v_or_b32_e32 v14, 0x300, v3
	v_mad_u64_u32 v[12:13], s[0:1], s2, v14, 0
	v_add_co_u32_e64 v27, s[0:1], v0, v7
	v_mov_b32_e32 v9, v13
	v_addc_co_u32_e64 v28, s[0:1], v4, v8, s[0:1]
	v_lshlrev_b64 v[7:8], 3, v[10:11]
	v_mad_u64_u32 v[9:10], s[0:1], s3, v14, v[9:10]
	v_add_u32_e32 v14, 0x3c0, v3
	v_mad_u64_u32 v[10:11], s[0:1], s2, v14, 0
	v_add_co_u32_e64 v29, s[0:1], v0, v7
	v_mov_b32_e32 v13, v9
	v_mov_b32_e32 v9, v11
	v_addc_co_u32_e64 v30, s[0:1], v4, v8, s[0:1]
	v_lshlrev_b64 v[7:8], 3, v[12:13]
	v_mad_u64_u32 v[11:12], s[0:1], s3, v14, v[9:10]
	v_or_b32_e32 v14, 0x480, v3
	v_mad_u64_u32 v[12:13], s[0:1], s2, v14, 0
	v_add_co_u32_e64 v31, s[0:1], v0, v7
	;; [unrolled: 15-line block ×3, first 2 shown]
	v_mov_b32_e32 v9, v13
	v_addc_co_u32_e64 v36, s[0:1], v4, v8, s[0:1]
	v_lshlrev_b64 v[7:8], 3, v[10:11]
	v_mad_u64_u32 v[9:10], s[0:1], s3, v14, v[9:10]
	v_add_co_u32_e64 v37, s[0:1], v0, v7
	v_mov_b32_e32 v13, v9
	v_add_u32_e32 v9, 0x6c0, v3
	v_addc_co_u32_e64 v38, s[0:1], v4, v8, s[0:1]
	v_mad_u64_u32 v[39:40], s[0:1], s2, v9, 0
	v_lshlrev_b64 v[7:8], 3, v[12:13]
	v_add_co_u32_e64 v41, s[0:1], v0, v7
	v_mov_b32_e32 v7, v40
	v_addc_co_u32_e64 v42, s[0:1], v4, v8, s[0:1]
	v_mad_u64_u32 v[43:44], s[0:1], s3, v9, v[7:8]
	global_load_dwordx2 v[7:8], v[23:24], off
	global_load_dwordx2 v[9:10], v[25:26], off
	;; [unrolled: 1-line block ×8, first 2 shown]
                                        ; implicit-def: $vgpr35
                                        ; implicit-def: $vgpr37
                                        ; implicit-def: $vgpr31
                                        ; implicit-def: $vgpr33
                                        ; implicit-def: $vgpr29
	v_mov_b32_e32 v40, v43
	v_lshlrev_b64 v[23:24], 3, v[39:40]
                                        ; implicit-def: $vgpr39
                                        ; implicit-def: $vgpr43
	v_add_co_u32_e64 v25, s[0:1], v0, v23
	v_addc_co_u32_e64 v26, s[0:1], v4, v24, s[0:1]
	global_load_dwordx2 v[27:28], v[41:42], off
	global_load_dwordx2 v[23:24], v[25:26], off
	s_movk_i32 s0, 0x48
	v_cmp_gt_u32_e64 s[0:1], s0, v3
                                        ; implicit-def: $vgpr41
                                        ; implicit-def: $vgpr25
	s_and_saveexec_b64 s[8:9], s[0:1]
	s_cbranch_execz .LBB0_14
; %bb.13:
	v_add_u32_e32 v31, 0x78, v3
	v_mad_u64_u32 v[25:26], s[0:1], s2, v31, 0
	v_add_u32_e32 v33, 0x138, v3
	v_mad_u64_u32 v[29:30], s[0:1], s2, v33, 0
	s_waitcnt vmcnt(1)
	v_mad_u64_u32 v[31:32], s[0:1], s3, v31, v[26:27]
	v_add_u32_e32 v48, 0x438, v3
	v_add_u32_e32 v57, 0x738, v3
	v_mov_b32_e32 v26, v31
	v_mad_u64_u32 v[30:31], s[0:1], s3, v33, v[30:31]
	v_add_u32_e32 v33, 0x1f8, v3
	v_mad_u64_u32 v[31:32], s[0:1], s2, v33, 0
	v_lshlrev_b64 v[25:26], 3, v[25:26]
	v_add_co_u32_e64 v35, s[0:1], v0, v25
	v_addc_co_u32_e64 v36, s[0:1], v4, v26, s[0:1]
	v_lshlrev_b64 v[25:26], 3, v[29:30]
	v_mov_b32_e32 v29, v32
	v_mad_u64_u32 v[29:30], s[0:1], s3, v33, v[29:30]
	v_add_u32_e32 v30, 0x2b8, v3
	v_mad_u64_u32 v[33:34], s[0:1], s2, v30, 0
	v_add_co_u32_e64 v37, s[0:1], v0, v25
	v_mov_b32_e32 v32, v29
	v_mov_b32_e32 v29, v34
	v_addc_co_u32_e64 v38, s[0:1], v4, v26, s[0:1]
	v_mad_u64_u32 v[29:30], s[0:1], s3, v30, v[29:30]
	v_lshlrev_b64 v[25:26], 3, v[31:32]
	v_add_co_u32_e64 v39, s[0:1], v0, v25
	v_mov_b32_e32 v34, v29
	v_add_u32_e32 v29, 0x378, v3
	v_addc_co_u32_e64 v40, s[0:1], v4, v26, s[0:1]
	v_mad_u64_u32 v[41:42], s[0:1], s2, v29, 0
	v_lshlrev_b64 v[25:26], 3, v[33:34]
	v_add_co_u32_e64 v43, s[0:1], v0, v25
	v_mov_b32_e32 v25, v42
	v_addc_co_u32_e64 v44, s[0:1], v4, v26, s[0:1]
	v_mad_u64_u32 v[45:46], s[0:1], s3, v29, v[25:26]
	v_mad_u64_u32 v[46:47], s[0:1], s2, v48, 0
	global_load_dwordx2 v[25:26], v[35:36], off
	global_load_dwordx2 v[29:30], v[37:38], off
	;; [unrolled: 1-line block ×4, first 2 shown]
	v_add_u32_e32 v40, 0x4f8, v3
	v_mov_b32_e32 v37, v47
	v_mad_u64_u32 v[37:38], s[0:1], s3, v48, v[37:38]
	v_mad_u64_u32 v[38:39], s[0:1], s2, v40, 0
	v_mov_b32_e32 v42, v45
	v_lshlrev_b64 v[35:36], 3, v[41:42]
	v_mov_b32_e32 v47, v37
	v_add_co_u32_e64 v43, s[0:1], v0, v35
	v_mov_b32_e32 v37, v39
	v_addc_co_u32_e64 v44, s[0:1], v4, v36, s[0:1]
	v_mad_u64_u32 v[39:40], s[0:1], s3, v40, v[37:38]
	v_add_u32_e32 v42, 0x5b8, v3
	v_mad_u64_u32 v[40:41], s[0:1], s2, v42, 0
	v_lshlrev_b64 v[35:36], 3, v[46:47]
	v_add_co_u32_e64 v45, s[0:1], v0, v35
	v_mov_b32_e32 v37, v41
	v_addc_co_u32_e64 v46, s[0:1], v4, v36, s[0:1]
	v_lshlrev_b64 v[35:36], 3, v[38:39]
	v_mad_u64_u32 v[37:38], s[0:1], s3, v42, v[37:38]
	v_add_co_u32_e64 v47, s[0:1], v0, v35
	v_mov_b32_e32 v41, v37
	v_add_u32_e32 v37, 0x678, v3
	v_addc_co_u32_e64 v48, s[0:1], v4, v36, s[0:1]
	v_mad_u64_u32 v[50:51], s[0:1], s2, v37, 0
	v_lshlrev_b64 v[35:36], 3, v[40:41]
	v_add_co_u32_e64 v52, s[0:1], v0, v35
	v_mov_b32_e32 v35, v51
	v_addc_co_u32_e64 v53, s[0:1], v4, v36, s[0:1]
	v_mad_u64_u32 v[54:55], s[0:1], s3, v37, v[35:36]
	v_mad_u64_u32 v[55:56], s[0:1], s2, v57, 0
	global_load_dwordx2 v[41:42], v[43:44], off
	global_load_dwordx2 v[35:36], v[45:46], off
	;; [unrolled: 1-line block ×4, first 2 shown]
	v_mov_b32_e32 v51, v54
	v_mov_b32_e32 v45, v56
	v_mad_u64_u32 v[45:46], s[0:1], s3, v57, v[45:46]
	v_lshlrev_b64 v[43:44], 3, v[50:51]
	v_add_co_u32_e64 v47, s[0:1], v0, v43
	v_mov_b32_e32 v56, v45
	v_addc_co_u32_e64 v48, s[0:1], v4, v44, s[0:1]
	v_lshlrev_b64 v[43:44], 3, v[55:56]
	v_add_co_u32_e64 v50, s[0:1], v0, v43
	v_addc_co_u32_e64 v51, s[0:1], v4, v44, s[0:1]
	global_load_dwordx2 v[45:46], v[47:48], off
	global_load_dwordx2 v[43:44], v[50:51], off
.LBB0_14:
	s_or_b64 exec, exec, s[8:9]
.LBB0_15:
	s_or_b64 exec, exec, s[6:7]
	s_waitcnt vmcnt(3)
	v_add_f32_e32 v0, v19, v21
	v_fma_f32 v51, -0.5, v0, v7
	v_sub_f32_e32 v0, v17, v19
	s_waitcnt vmcnt(1)
	v_sub_f32_e32 v47, v27, v21
	v_add_f32_e32 v54, v0, v47
	v_add_f32_e32 v0, v17, v27
	;; [unrolled: 1-line block ×3, first 2 shown]
	v_fmac_f32_e32 v7, -0.5, v0
	v_sub_f32_e32 v53, v20, v22
	v_mov_b32_e32 v55, v7
	v_sub_f32_e32 v52, v18, v28
	v_fmac_f32_e32 v55, 0xbf737871, v53
	v_sub_f32_e32 v0, v19, v17
	v_sub_f32_e32 v47, v21, v27
	v_fmac_f32_e32 v7, 0x3f737871, v53
	v_fmac_f32_e32 v55, 0x3f167918, v52
	v_add_f32_e32 v0, v0, v47
	v_fmac_f32_e32 v7, 0xbf167918, v52
	v_fmac_f32_e32 v55, 0x3e9e377a, v0
	;; [unrolled: 1-line block ×3, first 2 shown]
	v_add_f32_e32 v0, v13, v15
	v_fma_f32 v63, -0.5, v0, v9
	v_sub_f32_e32 v0, v11, v13
	s_waitcnt vmcnt(0)
	v_sub_f32_e32 v48, v23, v15
	v_add_f32_e32 v56, v0, v48
	v_add_f32_e32 v0, v11, v23
	;; [unrolled: 1-line block ×3, first 2 shown]
	v_fmac_f32_e32 v9, -0.5, v0
	v_sub_f32_e32 v57, v14, v16
	v_mov_b32_e32 v64, v9
	v_sub_f32_e32 v0, v13, v11
	v_sub_f32_e32 v48, v15, v23
	v_fmac_f32_e32 v64, 0xbf737871, v57
	v_sub_f32_e32 v58, v12, v24
	v_fmac_f32_e32 v9, 0x3f737871, v57
	v_add_f32_e32 v0, v0, v48
	v_fmac_f32_e32 v64, 0x3f167918, v58
	v_fmac_f32_e32 v9, 0xbf167918, v58
	;; [unrolled: 1-line block ×4, first 2 shown]
	v_sub_f32_e32 v0, v12, v14
	v_sub_f32_e32 v48, v24, v16
	v_add_f32_e32 v59, v0, v48
	v_sub_f32_e32 v0, v14, v12
	v_sub_f32_e32 v48, v16, v24
	v_add_f32_e32 v0, v0, v48
	v_add_f32_e32 v48, v12, v24
	v_fma_f32 v65, -0.5, v48, v10
	v_sub_f32_e32 v60, v13, v15
	v_mov_b32_e32 v66, v65
	v_fmac_f32_e32 v66, 0x3f737871, v60
	v_sub_f32_e32 v61, v11, v23
	v_fmac_f32_e32 v65, 0xbf737871, v60
	v_fmac_f32_e32 v66, 0xbf167918, v61
	v_fmac_f32_e32 v65, 0x3f167918, v61
	v_fmac_f32_e32 v66, 0x3e9e377a, v0
	v_fmac_f32_e32 v65, 0x3e9e377a, v0
	v_and_b32_e32 v0, 1, v49
	v_mov_b32_e32 v11, 0x780
	v_cmp_eq_u32_e64 s[0:1], 1, v0
	v_cndmask_b32_e64 v0, 0, v11, s[0:1]
	v_add_f32_e32 v11, v47, v13
	v_add_f32_e32 v11, v11, v15
	;; [unrolled: 1-line block ×4, first 2 shown]
	v_fma_f32 v11, -0.5, v11, v10
	v_mov_b32_e32 v15, v11
	v_mov_b32_e32 v13, v63
	v_fmac_f32_e32 v15, 0xbf737871, v61
	v_mov_b32_e32 v62, v51
	v_fmac_f32_e32 v13, 0x3f737871, v58
	v_fmac_f32_e32 v15, 0xbf167918, v60
	v_add_f32_e32 v4, v4, v19
	s_mov_b32 s0, 0x3f737871
	v_fmac_f32_e32 v62, 0x3f737871, v52
	v_fmac_f32_e32 v13, 0x3f167918, v57
	;; [unrolled: 1-line block ×3, first 2 shown]
	v_mul_f32_e32 v23, 0x3e9e377a, v9
	v_add_f32_e32 v4, v4, v21
	v_fmac_f32_e32 v62, 0x3f167918, v53
	v_fmac_f32_e32 v13, 0x3e9e377a, v56
	v_mul_f32_e32 v69, 0x3f167918, v15
	v_mul_f32_e32 v70, 0x3e9e377a, v64
	v_fma_f32 v71, v65, s0, -v23
	v_mul_u32_u24_e32 v23, 10, v3
	v_fmac_f32_e32 v63, 0xbf737871, v58
	v_add_f32_e32 v4, v4, v27
	v_fmac_f32_e32 v62, 0x3e9e377a, v54
	v_fmac_f32_e32 v69, 0x3f4f1bbd, v13
	;; [unrolled: 1-line block ×3, first 2 shown]
	v_lshl_add_u32 v23, v23, 2, 0
	v_fmac_f32_e32 v63, 0xbf167918, v57
	v_fmac_f32_e32 v11, 0x3f737871, v61
	v_add_f32_e32 v47, v4, v68
	v_add_f32_e32 v48, v62, v69
	;; [unrolled: 1-line block ×4, first 2 shown]
	v_lshl_add_u32 v67, v0, 2, v23
	v_fmac_f32_e32 v51, 0xbf737871, v52
	v_fmac_f32_e32 v63, 0x3e9e377a, v56
	;; [unrolled: 1-line block ×3, first 2 shown]
	ds_write2_b64 v67, v[47:48], v[49:50] offset1:1
	v_fmac_f32_e32 v51, 0xbf167918, v53
	v_fmac_f32_e32 v11, 0x3e9e377a, v59
	s_mov_b32 s1, 0x3f167918
	v_mul_f32_e32 v49, 0x3f4f1bbd, v63
	v_fmac_f32_e32 v51, 0x3e9e377a, v54
	v_fma_f32 v52, v11, s1, -v49
	v_sub_f32_e32 v47, v62, v69
	v_sub_f32_e32 v48, v55, v70
	;; [unrolled: 1-line block ×3, first 2 shown]
	v_add_f32_e32 v49, v51, v52
	ds_write2_b64 v67, v[49:50], v[47:48] offset0:2 offset1:3
	v_sub_f32_e32 v47, v7, v71
	v_sub_f32_e32 v4, v33, v41
	;; [unrolled: 1-line block ×3, first 2 shown]
	v_add_f32_e32 v7, v4, v7
	v_add_f32_e32 v4, v41, v39
	v_sub_f32_e32 v48, v51, v52
	v_fma_f32 v49, -0.5, v4, v25
	ds_write_b64 v67, v[47:48] offset:32
	v_sub_f32_e32 v47, v34, v46
	v_mov_b32_e32 v4, v49
	v_fmac_f32_e32 v4, 0x3f737871, v47
	v_sub_f32_e32 v48, v42, v40
	v_fmac_f32_e32 v49, 0xbf737871, v47
	v_fmac_f32_e32 v4, 0x3f167918, v48
	;; [unrolled: 1-line block ×5, first 2 shown]
	v_add_f32_e32 v7, v33, v45
	v_add_f32_e32 v50, v25, v33
	v_fmac_f32_e32 v25, -0.5, v7
	v_sub_f32_e32 v7, v41, v33
	v_sub_f32_e32 v51, v39, v45
	v_add_f32_e32 v7, v7, v51
	v_mov_b32_e32 v51, v25
	v_fmac_f32_e32 v51, 0xbf737871, v48
	v_fmac_f32_e32 v25, 0x3f737871, v48
	v_fmac_f32_e32 v51, 0x3f167918, v47
	v_fmac_f32_e32 v25, 0xbf167918, v47
	v_fmac_f32_e32 v51, 0x3e9e377a, v7
	v_fmac_f32_e32 v25, 0x3e9e377a, v7
	v_sub_f32_e32 v7, v31, v35
	v_sub_f32_e32 v47, v43, v37
	v_add_f32_e32 v47, v47, v7
	v_add_f32_e32 v7, v37, v35
	v_fma_f32 v68, -0.5, v7, v29
	v_sub_f32_e32 v48, v32, v44
	v_mov_b32_e32 v7, v68
	v_fmac_f32_e32 v7, 0x3f737871, v48
	v_sub_f32_e32 v52, v36, v38
	v_fmac_f32_e32 v68, 0xbf737871, v48
	v_fmac_f32_e32 v7, 0x3f167918, v52
	;; [unrolled: 1-line block ×3, first 2 shown]
	v_add_f32_e32 v53, v31, v43
	v_fmac_f32_e32 v7, 0x3e9e377a, v47
	v_fmac_f32_e32 v68, 0x3e9e377a, v47
	v_add_f32_e32 v47, v29, v31
	v_fmac_f32_e32 v29, -0.5, v53
	v_mov_b32_e32 v69, v29
	v_fmac_f32_e32 v69, 0xbf737871, v52
	v_fmac_f32_e32 v29, 0x3f737871, v52
	v_fmac_f32_e32 v69, 0x3f167918, v48
	v_fmac_f32_e32 v29, 0xbf167918, v48
	v_sub_f32_e32 v48, v32, v36
	v_sub_f32_e32 v52, v44, v38
	v_add_f32_e32 v48, v52, v48
	v_add_f32_e32 v52, v38, v36
	v_fma_f32 v70, -0.5, v52, v30
	v_sub_f32_e32 v53, v35, v31
	v_sub_f32_e32 v31, v31, v43
	v_mov_b32_e32 v71, v70
	v_sub_f32_e32 v54, v37, v43
	v_fmac_f32_e32 v71, 0xbf737871, v31
	v_sub_f32_e32 v52, v35, v37
	v_fmac_f32_e32 v70, 0x3f737871, v31
	v_add_f32_e32 v53, v54, v53
	v_fmac_f32_e32 v71, 0xbf167918, v52
	v_fmac_f32_e32 v70, 0x3f167918, v52
	;; [unrolled: 1-line block ×6, first 2 shown]
	v_sub_f32_e32 v48, v36, v32
	v_sub_f32_e32 v53, v38, v44
	v_add_f32_e32 v48, v53, v48
	v_add_f32_e32 v53, v32, v44
	v_fma_f32 v72, -0.5, v53, v30
	v_mov_b32_e32 v73, v72
	v_fmac_f32_e32 v73, 0x3f737871, v52
	v_fmac_f32_e32 v72, 0xbf737871, v52
	v_fmac_f32_e32 v73, 0xbf167918, v31
	v_add_f32_e32 v35, v47, v35
	v_fmac_f32_e32 v72, 0x3f167918, v31
	v_fmac_f32_e32 v73, 0x3e9e377a, v48
	v_add_f32_e32 v31, v50, v41
	v_add_f32_e32 v35, v37, v35
	v_fmac_f32_e32 v72, 0x3e9e377a, v48
	v_add_f32_e32 v31, v31, v39
	v_add_f32_e32 v35, v43, v35
	v_mul_f32_e32 v37, 0x3f4f1bbd, v7
	v_mul_f32_e32 v52, 0x3f737871, v73
	;; [unrolled: 1-line block ×4, first 2 shown]
	v_add_f32_e32 v31, v45, v31
	v_fmac_f32_e32 v37, 0x3f167918, v71
	v_fmac_f32_e32 v52, 0x3e9e377a, v69
	v_fma_f32 v43, v72, s0, -v43
	v_fma_f32 v50, v70, s1, -v50
	s_movk_i32 s0, 0x48
	v_add_f32_e32 v47, v51, v52
	v_add_f32_e32 v48, v25, v43
	;; [unrolled: 1-line block ×3, first 2 shown]
	v_sub_f32_e32 v54, v31, v35
	v_sub_f32_e32 v52, v51, v52
	v_sub_f32_e32 v51, v4, v37
	v_cmp_gt_u32_e64 s[2:3], s0, v3
	s_and_saveexec_b64 s[0:1], s[2:3]
	s_cbranch_execz .LBB0_17
; %bb.16:
	v_add_f32_e32 v56, v4, v37
	v_add_f32_e32 v55, v31, v35
	v_add_u32_e32 v4, 0x12c0, v67
	ds_write2_b64 v4, v[55:56], v[47:48] offset1:1
	v_add_u32_e32 v4, 0x12d0, v67
	v_sub_f32_e32 v50, v49, v50
	v_sub_f32_e32 v49, v25, v43
	ds_write2_b64 v4, v[53:54], v[51:52] offset1:1
	ds_write_b64 v67, v[49:50] offset:4832
.LBB0_17:
	s_or_b64 exec, exec, s[0:1]
	v_lshlrev_b32_e32 v4, 2, v0
	v_mul_i32_i24_e32 v31, 0xffffffdc, v3
	v_add3_u32 v23, v23, v31, v4
	v_add_u32_e32 v31, 0x180, v23
	s_waitcnt lgkmcnt(0)
	s_barrier
	ds_read2_b32 v[49:50], v31 offset0:24 offset1:224
	v_add_u32_e32 v31, 0x680, v23
	ds_read2_b32 v[61:62], v31 offset0:24 offset1:224
	v_add_u32_e32 v31, 0xb80, v23
	;; [unrolled: 2-line block ×3, first 2 shown]
	v_lshlrev_b32_e32 v25, 2, v3
	ds_read2_b32 v[57:58], v31 offset0:24 offset1:224
	v_add_u32_e32 v31, 0x1580, v23
	v_add3_u32 v0, 0, v4, v25
	ds_read2_b32 v[55:56], v31 offset0:24 offset1:224
	ds_read_b32 v31, v0
	ds_read_b32 v35, v23 offset:6880
	s_movk_i32 s0, 0x50
	v_cmp_gt_u32_e64 s[0:1], s0, v3
	s_and_saveexec_b64 s[6:7], s[0:1]
	s_cbranch_execz .LBB0_19
; %bb.18:
	v_add_u32_e32 v37, 0xc0, v23
	ds_read2st64_b32 v[47:48], v37 offset0:3 offset1:8
	ds_read2st64_b32 v[53:54], v37 offset0:13 offset1:18
	;; [unrolled: 1-line block ×3, first 2 shown]
.LBB0_19:
	s_or_b64 exec, exec, s[6:7]
	v_add_f32_e32 v43, v20, v22
	v_fma_f32 v43, -0.5, v43, v8
	v_sub_f32_e32 v17, v17, v27
	v_mov_b32_e32 v74, v43
	v_fmac_f32_e32 v74, 0xbf737871, v17
	v_sub_f32_e32 v19, v19, v21
	v_sub_f32_e32 v21, v18, v20
	;; [unrolled: 1-line block ×3, first 2 shown]
	v_fmac_f32_e32 v43, 0x3f737871, v17
	v_fmac_f32_e32 v74, 0xbf167918, v19
	v_add_f32_e32 v21, v21, v27
	v_fmac_f32_e32 v43, 0x3f167918, v19
	v_fmac_f32_e32 v74, 0x3e9e377a, v21
	;; [unrolled: 1-line block ×3, first 2 shown]
	v_add_f32_e32 v21, v18, v28
	v_add_f32_e32 v37, v8, v18
	v_fmac_f32_e32 v8, -0.5, v21
	v_add_f32_e32 v37, v37, v20
	v_mov_b32_e32 v75, v8
	v_sub_f32_e32 v18, v20, v18
	v_sub_f32_e32 v20, v22, v28
	v_fmac_f32_e32 v8, 0xbf737871, v19
	v_add_f32_e32 v10, v10, v12
	s_mov_b32 s6, 0xbf737871
	v_add_f32_e32 v18, v18, v20
	v_fmac_f32_e32 v8, 0x3f167918, v17
	v_add_f32_e32 v10, v10, v14
	v_mul_f32_e32 v12, 0xbf167918, v13
	v_mul_f32_e32 v14, 0x3e9e377a, v65
	v_add_f32_e32 v37, v37, v22
	v_fmac_f32_e32 v8, 0x3e9e377a, v18
	v_fmac_f32_e32 v12, 0x3f4f1bbd, v15
	v_fma_f32 v9, v9, s6, -v14
	v_add_f32_e32 v37, v37, v28
	v_add_f32_e32 v21, v74, v12
	;; [unrolled: 1-line block ×3, first 2 shown]
	v_sub_f32_e32 v65, v74, v12
	v_sub_f32_e32 v74, v8, v9
	v_add_f32_e32 v8, v26, v34
	v_add_f32_e32 v10, v10, v16
	;; [unrolled: 1-line block ×5, first 2 shown]
	v_fmac_f32_e32 v75, 0x3f737871, v19
	v_add_f32_e32 v20, v37, v10
	v_mul_f32_e32 v13, 0xbf737871, v64
	v_sub_f32_e32 v64, v37, v10
	v_add_f32_e32 v10, v46, v8
	v_add_f32_e32 v8, v42, v40
	s_mov_b32 s7, 0xbf167918
	v_fmac_f32_e32 v75, 0xbf167918, v17
	v_mul_f32_e32 v11, 0x3f4f1bbd, v11
	v_fma_f32 v9, -0.5, v8, v26
	v_fmac_f32_e32 v75, 0x3e9e377a, v18
	v_fmac_f32_e32 v13, 0x3e9e377a, v66
	v_fma_f32 v11, v63, s7, -v11
	v_sub_f32_e32 v8, v33, v45
	v_mov_b32_e32 v15, v9
	v_add_f32_e32 v27, v75, v13
	v_add_f32_e32 v63, v43, v11
	v_sub_f32_e32 v66, v75, v13
	v_sub_f32_e32 v75, v43, v11
	v_fmac_f32_e32 v15, 0xbf737871, v8
	v_sub_f32_e32 v11, v41, v39
	v_sub_f32_e32 v12, v34, v42
	;; [unrolled: 1-line block ×3, first 2 shown]
	v_fmac_f32_e32 v9, 0x3f737871, v8
	v_fmac_f32_e32 v15, 0xbf167918, v11
	v_add_f32_e32 v12, v12, v13
	v_fmac_f32_e32 v9, 0x3f167918, v11
	v_fmac_f32_e32 v15, 0x3e9e377a, v12
	;; [unrolled: 1-line block ×3, first 2 shown]
	v_add_f32_e32 v12, v34, v46
	v_fmac_f32_e32 v26, -0.5, v12
	v_mov_b32_e32 v12, v26
	v_fmac_f32_e32 v12, 0x3f737871, v11
	v_fmac_f32_e32 v26, 0xbf737871, v11
	;; [unrolled: 1-line block ×4, first 2 shown]
	v_add_f32_e32 v8, v30, v32
	v_add_f32_e32 v8, v8, v36
	v_sub_f32_e32 v13, v42, v34
	v_sub_f32_e32 v14, v40, v46
	v_add_f32_e32 v8, v38, v8
	v_add_f32_e32 v13, v13, v14
	;; [unrolled: 1-line block ×3, first 2 shown]
	v_mul_f32_e32 v17, 0xbf167918, v7
	v_mul_f32_e32 v22, 0xbf737871, v69
	;; [unrolled: 1-line block ×4, first 2 shown]
	v_fmac_f32_e32 v12, 0x3e9e377a, v13
	v_fmac_f32_e32 v26, 0x3e9e377a, v13
	;; [unrolled: 1-line block ×4, first 2 shown]
	v_fma_f32 v18, v29, s6, -v8
	v_fma_f32 v19, v68, s7, -v11
	v_add_f32_e32 v7, v12, v22
	v_add_f32_e32 v8, v26, v18
	;; [unrolled: 1-line block ×3, first 2 shown]
	v_sub_f32_e32 v14, v10, v16
	v_sub_f32_e32 v11, v15, v17
	;; [unrolled: 1-line block ×3, first 2 shown]
	v_add_u32_e32 v30, 0x78, v3
	s_waitcnt lgkmcnt(0)
	s_barrier
	ds_write2_b64 v67, v[20:21], v[27:28] offset1:1
	ds_write2_b64 v67, v[63:64], v[65:66] offset0:2 offset1:3
	ds_write_b64 v67, v[74:75] offset:32
	s_and_saveexec_b64 s[6:7], s[2:3]
	s_cbranch_execz .LBB0_21
; %bb.20:
	v_sub_f32_e32 v19, v9, v19
	v_mul_u32_u24_e32 v9, 10, v30
	v_lshlrev_b32_e32 v9, 2, v9
	v_add_f32_e32 v16, v10, v16
	v_add_f32_e32 v17, v15, v17
	v_add3_u32 v9, 0, v9, v4
	v_sub_f32_e32 v18, v26, v18
	ds_write2_b64 v9, v[16:17], v[7:8] offset1:1
	ds_write2_b64 v9, v[13:14], v[11:12] offset0:2 offset1:3
	ds_write_b64 v9, v[18:19] offset:32
.LBB0_21:
	s_or_b64 exec, exec, s[6:7]
	v_add_u32_e32 v15, 0x680, v23
	s_waitcnt lgkmcnt(0)
	s_barrier
	ds_read2_b32 v[21:22], v15 offset0:24 offset1:224
	v_add_u32_e32 v15, 0xb80, v23
	ds_read2_b32 v[19:20], v15 offset0:24 offset1:224
	v_add_u32_e32 v15, 0x1080, v23
	v_add_u32_e32 v9, 0x180, v23
	ds_read2_b32 v[17:18], v15 offset0:24 offset1:224
	v_add_u32_e32 v15, 0x1580, v23
	ds_read2_b32 v[9:10], v9 offset0:24 offset1:224
	ds_read2_b32 v[15:16], v15 offset0:24 offset1:224
	ds_read_b32 v24, v0
	ds_read_b32 v34, v23 offset:6880
	s_and_saveexec_b64 s[2:3], s[0:1]
	s_cbranch_execz .LBB0_23
; %bb.22:
	v_add_u32_e32 v11, 0xc0, v23
	ds_read2st64_b32 v[7:8], v11 offset0:3 offset1:8
	ds_read2st64_b32 v[13:14], v11 offset0:13 offset1:18
	;; [unrolled: 1-line block ×3, first 2 shown]
.LBB0_23:
	s_or_b64 exec, exec, s[2:3]
	s_movk_i32 s3, 0xcd
	v_mul_lo_u16_sdwa v26, v3, s3 dst_sel:DWORD dst_unused:UNUSED_PAD src0_sel:BYTE_0 src1_sel:DWORD
	v_lshrrev_b16_e32 v63, 11, v26
	v_mul_lo_u16_e32 v26, 10, v63
	v_sub_u16_e32 v64, v3, v26
	v_mov_b32_e32 v44, 5
	v_mul_u32_u24_sdwa v26, v64, v44 dst_sel:DWORD dst_unused:UNUSED_PAD src0_sel:BYTE_0 src1_sel:DWORD
	v_lshlrev_b32_e32 v26, 3, v26
	global_load_dwordx2 v[32:33], v26, s[12:13] offset:32
	global_load_dwordx4 v[36:39], v26, s[12:13] offset:16
	global_load_dwordx4 v[40:43], v26, s[12:13]
	v_add_u32_e32 v46, 0xf0, v3
	s_movk_i32 s2, 0xf0
	s_waitcnt vmcnt(1)
	v_mul_f32_e32 v29, v58, v39
	s_waitcnt vmcnt(0)
	v_mul_f32_e32 v27, v50, v41
	v_mul_f32_e32 v28, v62, v43
	s_waitcnt lgkmcnt(3)
	v_mul_f32_e32 v26, v10, v41
	v_fmac_f32_e32 v27, v10, v40
	v_mul_f32_e32 v10, v22, v43
	v_fmac_f32_e32 v28, v22, v42
	v_mul_f32_e32 v22, v20, v37
	v_fma_f32 v26, v50, v40, -v26
	v_fma_f32 v50, v60, v36, -v22
	v_mul_f32_e32 v22, v60, v37
	v_fmac_f32_e32 v22, v20, v36
	v_mul_f32_e32 v20, v18, v39
	v_fmac_f32_e32 v29, v18, v38
	s_waitcnt lgkmcnt(2)
	v_mul_f32_e32 v18, v16, v33
	v_fma_f32 v20, v58, v38, -v20
	v_fma_f32 v58, v56, v32, -v18
	v_mul_f32_e32 v18, v56, v33
	v_fmac_f32_e32 v18, v16, v32
	v_mul_lo_u16_sdwa v16, v30, s3 dst_sel:DWORD dst_unused:UNUSED_PAD src0_sel:BYTE_0 src1_sel:DWORD
	v_lshrrev_b16_e32 v56, 11, v16
	v_mul_lo_u16_e32 v16, 10, v56
	v_sub_u16_e32 v60, v30, v16
	v_mul_u32_u24_sdwa v16, v60, v44 dst_sel:DWORD dst_unused:UNUSED_PAD src0_sel:BYTE_0 src1_sel:DWORD
	v_lshlrev_b32_e32 v16, 3, v16
	v_fma_f32 v10, v62, v42, -v10
	global_load_dwordx2 v[44:45], v16, s[12:13] offset:32
	global_load_dwordx4 v[36:39], v16, s[12:13] offset:16
	global_load_dwordx4 v[40:43], v16, s[12:13]
	s_mov_b32 s3, 0xcccd
	s_waitcnt vmcnt(1)
	v_mul_f32_e32 v33, v55, v39
	s_waitcnt vmcnt(0)
	v_mul_f32_e32 v30, v61, v41
	v_mul_f32_e32 v32, v59, v43
	;; [unrolled: 1-line block ×3, first 2 shown]
	v_fmac_f32_e32 v30, v21, v40
	v_mul_f32_e32 v21, v19, v43
	v_fmac_f32_e32 v32, v19, v42
	v_mul_f32_e32 v19, v17, v37
	v_fma_f32 v21, v59, v42, -v21
	v_fma_f32 v59, v57, v36, -v19
	v_mul_f32_e32 v19, v57, v37
	v_fmac_f32_e32 v19, v17, v36
	v_mul_f32_e32 v17, v15, v39
	v_fmac_f32_e32 v33, v15, v38
	s_waitcnt lgkmcnt(0)
	v_mul_f32_e32 v15, v34, v45
	v_fma_f32 v17, v55, v38, -v17
	v_fma_f32 v55, v35, v44, -v15
	v_mul_f32_e32 v15, v35, v45
	v_fmac_f32_e32 v15, v34, v44
	v_mul_u32_u24_sdwa v34, v46, s3 dst_sel:DWORD dst_unused:UNUSED_PAD src0_sel:WORD_0 src1_sel:DWORD
	v_lshrrev_b32_e32 v57, 19, v34
	v_mul_lo_u16_e32 v34, 10, v57
	v_fma_f32 v16, v61, v40, -v16
	v_sub_u16_e32 v61, v46, v34
	v_mul_u32_u24_e32 v34, 5, v61
	v_lshlrev_b32_e32 v34, 3, v34
	global_load_dwordx2 v[45:46], v34, s[12:13] offset:32
	global_load_dwordx4 v[41:44], v34, s[12:13] offset:16
	global_load_dwordx4 v[35:38], v34, s[12:13]
	s_waitcnt vmcnt(0)
	s_barrier
	v_mul_f32_e32 v39, v52, v46
	v_fmac_f32_e32 v39, v12, v45
	v_mul_f32_e32 v34, v8, v36
	v_fma_f32 v40, v48, v35, -v34
	v_mul_f32_e32 v34, v48, v36
	v_fmac_f32_e32 v34, v8, v35
	v_mul_f32_e32 v8, v13, v38
	v_mul_f32_e32 v35, v53, v38
	;; [unrolled: 1-line block ×4, first 2 shown]
	v_fmac_f32_e32 v35, v13, v37
	v_mul_f32_e32 v13, v14, v42
	v_fmac_f32_e32 v36, v14, v41
	v_mul_f32_e32 v14, v11, v44
	;; [unrolled: 2-line block ×3, first 2 shown]
	v_fma_f32 v8, v53, v37, -v8
	v_fma_f32 v37, v51, v43, -v14
	;; [unrolled: 1-line block ×3, first 2 shown]
	v_add_f32_e32 v11, v31, v10
	v_fma_f32 v13, v54, v41, -v13
	v_add_f32_e32 v41, v11, v20
	v_add_f32_e32 v11, v10, v20
	v_fmac_f32_e32 v31, -0.5, v11
	v_sub_f32_e32 v11, v28, v29
	v_mov_b32_e32 v42, v31
	v_fmac_f32_e32 v42, 0x3f5db3d7, v11
	v_fmac_f32_e32 v31, 0xbf5db3d7, v11
	v_add_f32_e32 v11, v26, v50
	v_add_f32_e32 v43, v11, v58
	;; [unrolled: 1-line block ×3, first 2 shown]
	v_fmac_f32_e32 v26, -0.5, v11
	v_sub_f32_e32 v12, v22, v18
	v_mov_b32_e32 v11, v26
	v_fmac_f32_e32 v11, 0x3f5db3d7, v12
	v_fmac_f32_e32 v26, 0xbf5db3d7, v12
	v_add_f32_e32 v12, v22, v18
	v_fma_f32 v12, -0.5, v12, v27
	v_sub_f32_e32 v44, v50, v58
	v_mov_b32_e32 v48, v12
	v_fmac_f32_e32 v12, 0x3f5db3d7, v44
	v_mul_f32_e32 v50, -0.5, v26
	v_fmac_f32_e32 v50, 0x3f5db3d7, v12
	v_fmac_f32_e32 v48, 0xbf5db3d7, v44
	v_add_f32_e32 v52, v31, v50
	v_sub_f32_e32 v58, v31, v50
	v_add_f32_e32 v31, v49, v21
	v_add_f32_e32 v45, v41, v43
	v_mul_f32_e32 v44, 0x3f5db3d7, v48
	v_sub_f32_e32 v53, v41, v43
	v_add_f32_e32 v41, v31, v17
	v_add_f32_e32 v31, v21, v17
	v_fmac_f32_e32 v44, 0.5, v11
	v_fmac_f32_e32 v49, -0.5, v31
	v_add_f32_e32 v46, v42, v44
	v_sub_f32_e32 v54, v42, v44
	v_sub_f32_e32 v31, v32, v33
	v_mov_b32_e32 v42, v49
	v_fmac_f32_e32 v42, 0x3f5db3d7, v31
	v_fmac_f32_e32 v49, 0xbf5db3d7, v31
	v_add_f32_e32 v31, v16, v59
	v_add_f32_e32 v43, v31, v55
	;; [unrolled: 1-line block ×3, first 2 shown]
	v_fmac_f32_e32 v16, -0.5, v31
	v_sub_f32_e32 v44, v19, v15
	v_mov_b32_e32 v31, v16
	v_fmac_f32_e32 v31, 0x3f5db3d7, v44
	v_fmac_f32_e32 v16, 0xbf5db3d7, v44
	v_add_f32_e32 v44, v19, v15
	v_fma_f32 v50, -0.5, v44, v30
	v_sub_f32_e32 v44, v59, v55
	v_mov_b32_e32 v51, v50
	v_fmac_f32_e32 v51, 0xbf5db3d7, v44
	v_fmac_f32_e32 v50, 0x3f5db3d7, v44
	v_add_f32_e32 v55, v41, v43
	v_mul_f32_e32 v44, 0x3f5db3d7, v51
	v_sub_f32_e32 v66, v41, v43
	v_add_f32_e32 v41, v13, v14
	v_fmac_f32_e32 v44, 0.5, v31
	v_fma_f32 v41, -0.5, v41, v40
	v_add_f32_e32 v59, v42, v44
	v_sub_f32_e32 v67, v42, v44
	v_sub_f32_e32 v43, v36, v39
	v_mov_b32_e32 v42, v41
	v_mul_f32_e32 v62, -0.5, v16
	v_fmac_f32_e32 v42, 0x3f5db3d7, v43
	v_fmac_f32_e32 v41, 0xbf5db3d7, v43
	v_add_f32_e32 v43, v36, v39
	v_fmac_f32_e32 v62, 0x3f5db3d7, v50
	v_fma_f32 v43, -0.5, v43, v34
	v_add_f32_e32 v65, v49, v62
	v_sub_f32_e32 v62, v49, v62
	v_sub_f32_e32 v49, v13, v14
	v_mov_b32_e32 v44, v43
	v_fmac_f32_e32 v44, 0xbf5db3d7, v49
	v_fmac_f32_e32 v43, 0x3f5db3d7, v49
	v_mad_u32_u24 v49, v63, s2, 0
	v_mov_b32_e32 v63, 2
	v_lshlrev_b32_sdwa v64, v63, v64 dst_sel:DWORD dst_unused:UNUSED_PAD src0_sel:DWORD src1_sel:BYTE_0
	v_add3_u32 v49, v49, v64, v4
	ds_write2_b32 v49, v45, v46 offset1:10
	ds_write2_b32 v49, v52, v53 offset0:20 offset1:30
	ds_write2_b32 v49, v54, v58 offset0:40 offset1:50
	v_mad_u32_u24 v45, v56, s2, 0
	v_lshlrev_b32_sdwa v46, v63, v60 dst_sel:DWORD dst_unused:UNUSED_PAD src0_sel:DWORD src1_sel:BYTE_0
	v_add3_u32 v52, v45, v46, v4
	v_mul_lo_u16_e32 v45, 60, v57
	v_lshl_add_u32 v46, v61, 2, 0
	ds_write2_b32 v52, v55, v59 offset1:10
	ds_write2_b32 v52, v65, v66 offset0:20 offset1:30
	ds_write2_b32 v52, v67, v62 offset0:40 offset1:50
	s_and_saveexec_b64 s[2:3], s[0:1]
	s_cbranch_execz .LBB0_25
; %bb.24:
	v_add_f32_e32 v53, v8, v37
	v_fma_f32 v53, -0.5, v53, v47
	v_sub_f32_e32 v54, v35, v38
	v_mov_b32_e32 v55, v53
	v_add_f32_e32 v47, v47, v8
	v_add_f32_e32 v13, v40, v13
	v_fmac_f32_e32 v55, 0xbf5db3d7, v54
	v_fmac_f32_e32 v53, 0x3f5db3d7, v54
	v_mul_f32_e32 v54, 0x3f5db3d7, v44
	v_add_f32_e32 v47, v47, v37
	v_add_f32_e32 v13, v13, v14
	v_mul_f32_e32 v56, -0.5, v41
	v_fmac_f32_e32 v54, 0.5, v42
	v_sub_f32_e32 v14, v47, v13
	v_add_f32_e32 v13, v47, v13
	v_lshlrev_b32_e32 v47, 2, v45
	v_fmac_f32_e32 v56, 0x3f5db3d7, v43
	v_sub_f32_e32 v58, v53, v54
	v_add_f32_e32 v53, v53, v54
	v_add3_u32 v47, v46, v47, v4
	v_sub_f32_e32 v57, v55, v56
	v_add_f32_e32 v40, v55, v56
	ds_write2_b32 v47, v13, v53 offset1:10
	ds_write2_b32 v47, v40, v14 offset0:20 offset1:30
	ds_write2_b32 v47, v58, v57 offset0:40 offset1:50
.LBB0_25:
	s_or_b64 exec, exec, s[2:3]
	v_add_f32_e32 v14, v28, v29
	v_add_f32_e32 v13, v24, v28
	v_fmac_f32_e32 v24, -0.5, v14
	v_sub_f32_e32 v10, v10, v20
	v_mov_b32_e32 v14, v24
	v_mul_f32_e32 v11, 0xbf5db3d7, v11
	v_fmac_f32_e32 v14, 0xbf5db3d7, v10
	v_fmac_f32_e32 v24, 0x3f5db3d7, v10
	v_add_f32_e32 v10, v27, v22
	v_fmac_f32_e32 v11, 0.5, v48
	v_add_f32_e32 v13, v13, v29
	v_add_f32_e32 v10, v10, v18
	;; [unrolled: 1-line block ×3, first 2 shown]
	v_mul_f32_e32 v12, -0.5, v12
	v_sub_f32_e32 v54, v14, v11
	v_add_f32_e32 v11, v32, v33
	v_add_f32_e32 v40, v13, v10
	v_fmac_f32_e32 v12, 0xbf5db3d7, v26
	v_sub_f32_e32 v53, v13, v10
	v_add_f32_e32 v10, v9, v32
	v_fmac_f32_e32 v9, -0.5, v11
	v_add_f32_e32 v48, v24, v12
	v_sub_f32_e32 v55, v24, v12
	v_sub_f32_e32 v11, v21, v17
	v_mov_b32_e32 v12, v9
	v_fmac_f32_e32 v12, 0xbf5db3d7, v11
	v_fmac_f32_e32 v9, 0x3f5db3d7, v11
	v_add_f32_e32 v11, v30, v19
	v_mul_f32_e32 v13, 0xbf5db3d7, v31
	v_mul_f32_e32 v14, -0.5, v50
	v_add3_u32 v24, 0, v25, v4
	v_add_f32_e32 v10, v10, v33
	v_add_f32_e32 v11, v11, v15
	v_fmac_f32_e32 v13, 0.5, v51
	v_fmac_f32_e32 v14, 0xbf5db3d7, v16
	v_add_u32_e32 v25, 0x200, v24
	v_add_u32_e32 v26, 0x600, v24
	;; [unrolled: 1-line block ×7, first 2 shown]
	v_add_f32_e32 v56, v10, v11
	v_add_f32_e32 v51, v12, v13
	;; [unrolled: 1-line block ×3, first 2 shown]
	v_sub_f32_e32 v57, v10, v11
	v_sub_f32_e32 v58, v12, v13
	;; [unrolled: 1-line block ×3, first 2 shown]
	s_waitcnt lgkmcnt(0)
	s_barrier
	ds_read_b32 v32, v0
	ds_read_b32 v33, v23 offset:480
	ds_read2_b32 v[21:22], v25 offset0:112 offset1:232
	ds_read2_b32 v[19:20], v26 offset0:96 offset1:216
	;; [unrolled: 1-line block ×7, first 2 shown]
	s_waitcnt lgkmcnt(0)
	s_barrier
	ds_write2_b32 v49, v40, v47 offset1:10
	ds_write2_b32 v49, v48, v53 offset0:20 offset1:30
	ds_write2_b32 v49, v54, v55 offset0:40 offset1:50
	ds_write2_b32 v52, v56, v51 offset1:10
	ds_write2_b32 v52, v50, v57 offset0:20 offset1:30
	ds_write2_b32 v52, v58, v59 offset0:40 offset1:50
	s_and_saveexec_b64 s[2:3], s[0:1]
	s_cbranch_execz .LBB0_27
; %bb.26:
	v_add_f32_e32 v40, v7, v35
	v_add_f32_e32 v35, v35, v38
	v_fmac_f32_e32 v7, -0.5, v35
	v_sub_f32_e32 v8, v8, v37
	v_mov_b32_e32 v35, v7
	v_fmac_f32_e32 v35, 0xbf5db3d7, v8
	v_fmac_f32_e32 v7, 0x3f5db3d7, v8
	v_add_f32_e32 v8, v34, v36
	v_mul_f32_e32 v36, 0xbf5db3d7, v42
	v_fmac_f32_e32 v36, 0.5, v44
	v_add_f32_e32 v40, v40, v38
	v_add_f32_e32 v8, v8, v39
	;; [unrolled: 1-line block ×3, first 2 shown]
	v_mul_f32_e32 v38, -0.5, v43
	v_sub_f32_e32 v35, v35, v36
	v_lshlrev_b32_e32 v36, 2, v45
	v_add_f32_e32 v34, v40, v8
	v_fmac_f32_e32 v38, 0xbf5db3d7, v41
	v_add3_u32 v36, v46, v36, v4
	v_add_f32_e32 v39, v7, v38
	v_sub_f32_e32 v8, v40, v8
	v_sub_f32_e32 v7, v7, v38
	ds_write2_b32 v36, v34, v37 offset1:10
	ds_write2_b32 v36, v39, v8 offset0:20 offset1:30
	ds_write2_b32 v36, v35, v7 offset0:40 offset1:50
.LBB0_27:
	s_or_b64 exec, exec, s[2:3]
	v_subrev_u32_e32 v7, 60, v3
	v_cmp_gt_u32_e64 s[0:1], 60, v3
	v_cndmask_b32_e64 v78, v7, v3, s[0:1]
	v_mul_i32_i24_e32 v7, 15, v78
	v_mov_b32_e32 v8, 0
	v_lshlrev_b64 v[34:35], 3, v[7:8]
	v_mov_b32_e32 v7, s13
	v_add_co_u32_e64 v62, s[0:1], s12, v34
	v_addc_co_u32_e64 v63, s[0:1], v7, v35, s[0:1]
	s_waitcnt lgkmcnt(0)
	s_barrier
	global_load_dwordx4 v[34:37], v[62:63], off offset:400
	global_load_dwordx4 v[38:41], v[62:63], off offset:416
	;; [unrolled: 1-line block ×7, first 2 shown]
	global_load_dwordx2 v[64:65], v[62:63], off offset:512
	ds_read_b32 v7, v0
	ds_read_b32 v79, v23 offset:480
	ds_read2_b32 v[62:63], v25 offset0:112 offset1:232
	ds_read2_b32 v[66:67], v26 offset0:96 offset1:216
	;; [unrolled: 1-line block ×7, first 2 shown]
	v_cmp_lt_u32_e64 s[0:1], 59, v3
	s_waitcnt vmcnt(0) lgkmcnt(0)
	s_barrier
	v_mul_f32_e32 v80, v79, v35
	v_mul_f32_e32 v35, v33, v35
	v_mul_f32_e32 v81, v62, v37
	v_mul_f32_e32 v37, v21, v37
	v_fma_f32 v33, v33, v34, -v80
	v_fmac_f32_e32 v35, v79, v34
	v_mul_f32_e32 v34, v63, v39
	v_fma_f32 v21, v21, v36, -v81
	v_fmac_f32_e32 v37, v62, v36
	v_mul_f32_e32 v36, v22, v39
	v_mul_f32_e32 v39, v66, v41
	v_mul_f32_e32 v41, v19, v41
	v_mul_f32_e32 v62, v67, v43
	v_fma_f32 v22, v22, v38, -v34
	v_mul_f32_e32 v34, v20, v43
	v_mul_f32_e32 v43, v68, v45
	v_fmac_f32_e32 v36, v63, v38
	v_mul_f32_e32 v38, v17, v45
	v_mul_f32_e32 v45, v69, v47
	v_fma_f32 v19, v19, v40, -v39
	v_fmac_f32_e32 v41, v66, v40
	v_mul_f32_e32 v39, v18, v47
	v_mul_f32_e32 v40, v70, v49
	;; [unrolled: 1-line block ×3, first 2 shown]
	v_fma_f32 v20, v20, v42, -v62
	v_mul_f32_e32 v62, v72, v53
	v_fmac_f32_e32 v34, v67, v42
	v_mul_f32_e32 v42, v13, v53
	v_mul_f32_e32 v53, v73, v55
	v_fma_f32 v17, v17, v44, -v43
	v_fmac_f32_e32 v38, v68, v44
	v_mul_f32_e32 v43, v14, v55
	v_mul_f32_e32 v44, v74, v57
	;; [unrolled: 1-line block ×4, first 2 shown]
	v_fma_f32 v18, v18, v46, -v45
	v_mul_f32_e32 v45, v12, v59
	v_mul_f32_e32 v59, v76, v61
	v_fmac_f32_e32 v39, v69, v46
	v_mul_f32_e32 v46, v9, v61
	v_fma_f32 v15, v15, v48, -v40
	v_fmac_f32_e32 v47, v70, v48
	v_fma_f32 v11, v11, v56, -v44
	v_fmac_f32_e32 v55, v74, v56
	v_fma_f32 v13, v13, v52, -v62
	v_fmac_f32_e32 v42, v72, v52
	v_fma_f32 v9, v9, v60, -v59
	v_fmac_f32_e32 v46, v76, v60
	v_sub_f32_e32 v15, v32, v15
	v_sub_f32_e32 v44, v7, v47
	;; [unrolled: 1-line block ×4, first 2 shown]
	v_fma_f32 v19, v19, 2.0, -v11
	v_fma_f32 v41, v41, 2.0, -v47
	v_sub_f32_e32 v13, v21, v13
	v_sub_f32_e32 v42, v37, v42
	;; [unrolled: 1-line block ×5, first 2 shown]
	v_add_f32_e32 v11, v44, v11
	v_mul_f32_e32 v49, v71, v51
	v_mul_f32_e32 v51, v16, v51
	v_fma_f32 v32, v32, 2.0, -v15
	v_fma_f32 v7, v7, 2.0, -v44
	;; [unrolled: 1-line block ×6, first 2 shown]
	v_sub_f32_e32 v46, v13, v46
	v_add_f32_e32 v9, v42, v9
	v_mul_f32_e32 v61, v77, v65
	v_fma_f32 v16, v16, v50, -v49
	v_fmac_f32_e32 v51, v71, v50
	v_fma_f32 v21, v21, 2.0, -v13
	v_fma_f32 v37, v37, 2.0, -v42
	v_fma_f32 v13, v13, 2.0, -v46
	v_fma_f32 v42, v42, 2.0, -v9
	v_mov_b32_e32 v49, v15
	v_mov_b32_e32 v50, v44
	v_fma_f32 v12, v12, v58, -v57
	v_fmac_f32_e32 v45, v75, v58
	v_fma_f32 v40, v10, v64, -v61
	v_mul_f32_e32 v10, v10, v65
	v_fmac_f32_e32 v49, 0xbf3504f3, v13
	v_fmac_f32_e32 v50, 0xbf3504f3, v42
	v_fma_f32 v14, v14, v54, -v53
	v_fmac_f32_e32 v43, v73, v54
	v_fmac_f32_e32 v10, v77, v64
	v_sub_f32_e32 v16, v33, v16
	v_sub_f32_e32 v48, v35, v51
	;; [unrolled: 1-line block ×4, first 2 shown]
	v_fmac_f32_e32 v49, 0xbf3504f3, v42
	v_fmac_f32_e32 v50, 0x3f3504f3, v13
	v_mov_b32_e32 v42, v47
	v_fma_f32 v20, v20, 2.0, -v12
	v_fma_f32 v34, v34, 2.0, -v45
	v_sub_f32_e32 v14, v22, v14
	v_sub_f32_e32 v43, v36, v43
	;; [unrolled: 1-line block ×5, first 2 shown]
	v_add_f32_e32 v12, v48, v12
	v_fma_f32 v13, v15, 2.0, -v49
	v_fma_f32 v15, v44, 2.0, -v50
	v_fmac_f32_e32 v42, 0x3f3504f3, v46
	v_mov_b32_e32 v44, v11
	v_fma_f32 v33, v33, 2.0, -v16
	v_fma_f32 v35, v35, 2.0, -v48
	;; [unrolled: 1-line block ×6, first 2 shown]
	v_sub_f32_e32 v10, v14, v10
	v_add_f32_e32 v40, v43, v40
	v_fmac_f32_e32 v44, 0x3f3504f3, v9
	v_fmac_f32_e32 v42, 0xbf3504f3, v9
	v_fma_f32 v22, v22, 2.0, -v14
	v_fma_f32 v36, v36, 2.0, -v43
	;; [unrolled: 1-line block ×4, first 2 shown]
	v_fmac_f32_e32 v44, 0x3f3504f3, v46
	v_fma_f32 v9, v47, 2.0, -v42
	v_mov_b32_e32 v46, v16
	v_mov_b32_e32 v47, v48
	v_fmac_f32_e32 v46, 0xbf3504f3, v14
	v_fmac_f32_e32 v47, 0xbf3504f3, v43
	;; [unrolled: 1-line block ×4, first 2 shown]
	v_mov_b32_e32 v43, v45
	v_sub_f32_e32 v41, v7, v41
	v_sub_f32_e32 v17, v21, v17
	v_fma_f32 v14, v16, 2.0, -v46
	v_fma_f32 v16, v48, 2.0, -v47
	v_fmac_f32_e32 v43, 0x3f3504f3, v10
	v_mov_b32_e32 v48, v12
	v_sub_f32_e32 v19, v32, v19
	v_sub_f32_e32 v38, v37, v38
	v_fma_f32 v21, v21, 2.0, -v17
	v_sub_f32_e32 v34, v35, v34
	v_sub_f32_e32 v18, v22, v18
	v_add_f32_e32 v17, v41, v17
	v_fmac_f32_e32 v48, 0x3f3504f3, v40
	v_fmac_f32_e32 v43, 0xbf3504f3, v40
	v_fma_f32 v7, v7, 2.0, -v41
	v_fma_f32 v37, v37, 2.0, -v38
	v_sub_f32_e32 v20, v33, v20
	v_sub_f32_e32 v39, v36, v39
	v_fma_f32 v22, v22, 2.0, -v18
	v_sub_f32_e32 v38, v19, v38
	v_fma_f32 v41, v41, 2.0, -v17
	v_add_f32_e32 v18, v34, v18
	v_fmac_f32_e32 v48, 0x3f3504f3, v10
	v_fma_f32 v10, v45, 2.0, -v43
	v_mov_b32_e32 v45, v15
	v_fma_f32 v32, v32, 2.0, -v19
	v_fma_f32 v35, v35, 2.0, -v34
	;; [unrolled: 1-line block ×4, first 2 shown]
	v_sub_f32_e32 v39, v20, v39
	v_fma_f32 v34, v34, 2.0, -v18
	v_mov_b32_e32 v40, v13
	v_fmac_f32_e32 v45, 0xbf6c835e, v16
	v_mov_b32_e32 v52, v41
	v_fma_f32 v33, v33, 2.0, -v20
	v_fma_f32 v20, v20, 2.0, -v39
	v_fmac_f32_e32 v40, 0xbf6c835e, v14
	v_fmac_f32_e32 v45, 0x3ec3ef15, v14
	v_mov_b32_e32 v14, v19
	v_fmac_f32_e32 v52, 0xbf3504f3, v34
	v_fma_f32 v11, v11, 2.0, -v44
	v_fmac_f32_e32 v40, 0xbec3ef15, v16
	v_fmac_f32_e32 v14, 0xbf3504f3, v20
	;; [unrolled: 1-line block ×3, first 2 shown]
	v_mov_b32_e32 v16, v9
	v_fma_f32 v12, v12, 2.0, -v48
	v_fmac_f32_e32 v14, 0xbf3504f3, v34
	v_fma_f32 v34, v41, 2.0, -v52
	v_fmac_f32_e32 v16, 0xbec3ef15, v10
	v_mov_b32_e32 v41, v11
	v_fmac_f32_e32 v41, 0xbec3ef15, v12
	v_fmac_f32_e32 v16, 0xbf6c835e, v12
	v_mov_b32_e32 v12, v49
	v_sub_f32_e32 v21, v32, v21
	v_sub_f32_e32 v37, v7, v37
	v_sub_f32_e32 v22, v33, v22
	v_sub_f32_e32 v36, v35, v36
	v_fmac_f32_e32 v12, 0x3ec3ef15, v46
	v_mov_b32_e32 v54, v50
	v_fma_f32 v33, v33, 2.0, -v22
	v_fma_f32 v35, v35, 2.0, -v36
	v_fmac_f32_e32 v41, 0x3f6c835e, v10
	v_sub_f32_e32 v10, v21, v36
	v_add_f32_e32 v36, v37, v22
	v_fmac_f32_e32 v54, 0x3ec3ef15, v47
	v_fmac_f32_e32 v12, 0xbf6c835e, v47
	v_mov_b32_e32 v20, v38
	v_mov_b32_e32 v47, v17
	;; [unrolled: 1-line block ×3, first 2 shown]
	v_fmac_f32_e32 v20, 0x3f3504f3, v39
	v_fmac_f32_e32 v47, 0x3f3504f3, v18
	v_cndmask_b32_e64 v22, 0, v22, s[0:1]
	v_fmac_f32_e32 v20, 0xbf3504f3, v18
	v_fmac_f32_e32 v47, 0x3f3504f3, v39
	v_or_b32_e32 v22, v22, v78
	v_fma_f32 v32, v32, 2.0, -v21
	v_fma_f32 v18, v38, 2.0, -v20
	;; [unrolled: 1-line block ×3, first 2 shown]
	v_mov_b32_e32 v17, v42
	v_mov_b32_e32 v39, v44
	v_lshlrev_b32_e32 v22, 2, v22
	v_sub_f32_e32 v33, v32, v33
	v_fmac_f32_e32 v17, 0x3f6c835e, v43
	v_fmac_f32_e32 v39, 0x3f6c835e, v48
	v_add3_u32 v4, 0, v22, v4
	v_fma_f32 v32, v32, 2.0, -v33
	v_fma_f32 v13, v13, 2.0, -v40
	v_fmac_f32_e32 v17, 0xbec3ef15, v48
	v_fmac_f32_e32 v39, 0x3ec3ef15, v43
	v_add_u32_e32 v48, 0x600, v4
	v_fma_f32 v51, v15, 2.0, -v45
	v_fma_f32 v15, v19, 2.0, -v14
	;; [unrolled: 1-line block ×8, first 2 shown]
	ds_write2_b32 v4, v32, v13 offset1:60
	ds_write2_b32 v4, v15, v9 offset0:120 offset1:180
	v_add_u32_e32 v43, 0x200, v4
	v_add_u32_e32 v44, 0x400, v4
	ds_write2_b32 v48, v33, v40 offset0:96 offset1:156
	v_add_u32_e32 v33, 0x800, v4
	v_add_u32_e32 v40, 0xa00, v4
	;; [unrolled: 1-line block ×3, first 2 shown]
	ds_write2_b32 v43, v11, v19 offset0:112 offset1:172
	ds_write2_b32 v44, v18, v21 offset0:104 offset1:164
	;; [unrolled: 1-line block ×5, first 2 shown]
	s_waitcnt lgkmcnt(0)
	s_barrier
	ds_read2_b32 v[9:10], v31 offset0:64 offset1:184
	ds_read_b32 v31, v0
	ds_read_b32 v32, v23 offset:480
	ds_read2_b32 v[11:12], v25 offset0:112 offset1:232
	ds_read2_b32 v[13:14], v28 offset0:48 offset1:168
	;; [unrolled: 1-line block ×6, first 2 shown]
	v_fma_f32 v7, v7, 2.0, -v37
	v_sub_f32_e32 v35, v7, v35
	v_fma_f32 v7, v7, 2.0, -v35
	v_fmac_f32_e32 v54, 0x3f6c835e, v46
	v_fma_f32 v37, v37, 2.0, -v36
	v_fma_f32 v46, v50, 2.0, -v54
	s_waitcnt lgkmcnt(0)
	s_barrier
	ds_write2_b32 v4, v7, v51 offset1:60
	ds_write2_b32 v4, v34, v53 offset0:120 offset1:180
	ds_write2_b32 v43, v37, v46 offset0:112 offset1:172
	;; [unrolled: 1-line block ×7, first 2 shown]
	s_waitcnt lgkmcnt(0)
	s_barrier
	s_and_saveexec_b64 s[0:1], vcc
	s_cbranch_execz .LBB0_29
; %bb.28:
	v_add_u32_e32 v7, 0x348, v3
	v_lshlrev_b64 v[27:28], 3, v[7:8]
	v_mov_b32_e32 v30, s13
	v_add_co_u32_e32 v4, vcc, s12, v27
	v_add_u32_e32 v26, 0x2d0, v3
	v_addc_co_u32_e32 v7, vcc, v30, v28, vcc
	s_movk_i32 s0, 0x1000
	v_mov_b32_e32 v27, v8
	v_add_co_u32_e32 v28, vcc, s0, v4
	v_lshlrev_b64 v[26:27], 3, v[26:27]
	v_addc_co_u32_e32 v29, vcc, 0, v7, vcc
	v_add_co_u32_e32 v4, vcc, s12, v26
	v_addc_co_u32_e32 v7, vcc, v30, v27, vcc
	v_add_co_u32_e32 v26, vcc, s0, v4
	v_add_u32_e32 v25, 0x258, v3
	v_addc_co_u32_e32 v27, vcc, 0, v7, vcc
	global_load_dwordx2 v[33:34], v[28:29], off offset:3504
	global_load_dwordx2 v[35:36], v[26:27], off offset:3504
	v_mov_b32_e32 v26, v8
	v_lshlrev_b64 v[25:26], 3, v[25:26]
	s_movk_i32 s1, 0x2000
	v_add_co_u32_e32 v4, vcc, s12, v25
	v_addc_co_u32_e32 v7, vcc, v30, v26, vcc
	v_add_co_u32_e32 v25, vcc, s0, v4
	v_mov_b32_e32 v4, v8
	v_addc_co_u32_e32 v26, vcc, 0, v7, vcc
	v_lshlrev_b64 v[7:8], 3, v[3:4]
	global_load_dwordx2 v[25:26], v[25:26], off offset:3504
	v_add_co_u32_e32 v4, vcc, s12, v7
	v_addc_co_u32_e32 v30, vcc, v30, v8, vcc
	v_add_co_u32_e32 v7, vcc, s1, v4
	v_addc_co_u32_e32 v8, vcc, 0, v30, vcc
	global_load_dwordx2 v[27:28], v[7:8], off offset:3248
	v_add_co_u32_e32 v29, vcc, s0, v4
	v_addc_co_u32_e32 v30, vcc, 0, v30, vcc
	global_load_dwordx2 v[37:38], v[29:30], off offset:3504
	global_load_dwordx2 v[39:40], v[7:8], off offset:2288
	global_load_dwordx2 v[41:42], v[7:8], off offset:1328
	global_load_dwordx2 v[43:44], v[7:8], off offset:368
	v_mul_lo_u32 v8, s5, v5
	v_mul_lo_u32 v49, s4, v6
	v_mad_u64_u32 v[4:5], s[0:1], s4, v5, 0
	v_add_u32_e32 v6, 0xa00, v24
	v_add_u32_e32 v29, 0x1a00, v24
	;; [unrolled: 1-line block ×4, first 2 shown]
	ds_read2_b32 v[6:7], v6 offset0:80 offset1:200
	ds_read2_b32 v[29:30], v29 offset0:16 offset1:136
	ds_read2_b32 v[45:46], v45 offset0:96 offset1:216
	ds_read2_b32 v[47:48], v47 offset0:32 offset1:152
	v_add3_u32 v5, v5, v49, v8
	s_mov_b32 s0, 0x88888889
	v_lshlrev_b64 v[4:5], 3, v[4:5]
	s_movk_i32 s1, 0x780
	v_add_co_u32_e32 v4, vcc, s10, v4
	s_waitcnt vmcnt(7)
	v_mul_f32_e32 v8, v22, v34
	s_waitcnt lgkmcnt(2)
	v_mul_f32_e32 v34, v30, v34
	s_waitcnt vmcnt(6)
	v_mul_f32_e32 v49, v21, v36
	v_mul_f32_e32 v36, v29, v36
	v_fmac_f32_e32 v8, v30, v33
	v_fma_f32 v30, v22, v33, -v34
	v_fmac_f32_e32 v49, v29, v35
	v_fma_f32 v29, v21, v35, -v36
	v_sub_f32_e32 v21, v20, v30
	v_sub_f32_e32 v30, v6, v49
	v_fma_f32 v33, v20, 2.0, -v21
	v_fma_f32 v20, v6, 2.0, -v30
	v_sub_f32_e32 v22, v7, v8
	v_fma_f32 v34, v7, 2.0, -v22
	v_sub_f32_e32 v29, v19, v29
	s_waitcnt vmcnt(5) lgkmcnt(0)
	v_mul_f32_e32 v6, v48, v26
	v_fma_f32 v6, v18, v25, -v6
	v_sub_f32_e32 v7, v16, v6
	v_mul_f32_e32 v50, v18, v26
	v_fmac_f32_e32 v50, v48, v25
	v_sub_f32_e32 v8, v46, v50
	v_fma_f32 v36, v46, 2.0, -v8
	v_fma_f32 v35, v16, 2.0, -v7
	;; [unrolled: 1-line block ×3, first 2 shown]
	s_waitcnt vmcnt(4)
	v_mul_f32_e32 v6, v17, v28
	v_fmac_f32_e32 v6, v47, v27
	v_sub_f32_e32 v18, v45, v6
	v_mul_f32_e32 v6, v47, v28
	v_fma_f32 v6, v17, v27, -v6
	v_add_u32_e32 v17, 0x200, v24
	v_add_u32_e32 v24, 0x1200, v24
	ds_read2_b32 v[24:25], v24 offset0:48 offset1:168
	ds_read2_b32 v[26:27], v17 offset0:112 offset1:232
	v_sub_f32_e32 v17, v15, v6
	s_waitcnt vmcnt(2)
	v_mul_f32_e32 v6, v14, v40
	ds_read_b32 v0, v0
	s_waitcnt lgkmcnt(2)
	v_fmac_f32_e32 v6, v25, v39
	s_waitcnt lgkmcnt(1)
	v_sub_f32_e32 v28, v27, v6
	v_mul_f32_e32 v6, v25, v40
	v_fma_f32 v6, v14, v39, -v6
	v_fma_f32 v46, v27, 2.0, -v28
	v_sub_f32_e32 v27, v12, v6
	s_waitcnt vmcnt(1)
	v_mul_f32_e32 v6, v13, v42
	v_fmac_f32_e32 v6, v24, v41
	v_sub_f32_e32 v14, v26, v6
	v_mul_f32_e32 v6, v24, v42
	v_fma_f32 v6, v13, v41, -v6
	v_add_u32_e32 v13, 0xe00, v23
	ds_read2_b32 v[24:25], v13 offset0:64 offset1:184
	v_sub_f32_e32 v13, v11, v6
	ds_read_b32 v6, v23 offset:480
	s_waitcnt vmcnt(0)
	v_mul_f32_e32 v23, v10, v44
	v_fma_f32 v16, v45, 2.0, -v18
	s_waitcnt lgkmcnt(1)
	v_fmac_f32_e32 v23, v25, v43
	v_fma_f32 v45, v12, 2.0, -v27
	v_fma_f32 v12, v26, 2.0, -v14
	s_waitcnt lgkmcnt(0)
	v_sub_f32_e32 v26, v6, v23
	v_fma_f32 v40, v6, 2.0, -v26
	v_mul_f32_e32 v6, v25, v44
	v_fma_f32 v6, v10, v43, -v6
	v_sub_f32_e32 v25, v32, v6
	v_mul_hi_u32 v6, v3, s0
	v_mul_f32_e32 v10, v9, v38
	v_fmac_f32_e32 v10, v24, v37
	v_sub_f32_e32 v10, v0, v10
	v_lshrrev_b32_e32 v6, 9, v6
	v_mul_u32_u24_e32 v6, 0x3c0, v6
	v_sub_u32_e32 v6, v3, v6
	v_mad_u64_u32 v[41:42], s[2:3], s20, v6, 0
	v_fma_f32 v39, v32, 2.0, -v25
	v_fma_f32 v32, v0, 2.0, -v10
	v_mul_f32_e32 v38, v24, v38
	v_mov_b32_e32 v0, v42
	v_mad_u64_u32 v[23:24], s[2:3], s21, v6, v[0:1]
	v_fma_f32 v0, v9, v37, -v38
	v_sub_f32_e32 v9, v31, v0
	v_mov_b32_e32 v0, s11
	v_addc_co_u32_e32 v5, vcc, v0, v5, vcc
	v_lshlrev_b64 v[0:1], 3, v[1:2]
	v_add_u32_e32 v6, 0x3c0, v6
	v_add_co_u32_e32 v37, vcc, v4, v0
	v_mov_b32_e32 v42, v23
	v_addc_co_u32_e32 v38, vcc, v5, v1, vcc
	v_mad_u64_u32 v[4:5], s[2:3], s20, v6, 0
	v_add_u32_e32 v23, 0x78, v3
	v_mul_hi_u32 v24, v23, s0
	v_mov_b32_e32 v2, v5
	v_mad_u64_u32 v[5:6], s[2:3], s21, v6, v[2:3]
	v_lshrrev_b32_e32 v2, 9, v24
	v_mul_u32_u24_e32 v6, 0x3c0, v2
	v_sub_u32_e32 v6, v23, v6
	v_mad_u32_u24 v6, v2, s1, v6
	v_mad_u64_u32 v[23:24], s[2:3], s20, v6, 0
	v_lshlrev_b64 v[0:1], 3, v[41:42]
	v_fma_f32 v31, v31, 2.0, -v9
	v_add_co_u32_e32 v0, vcc, v37, v0
	v_addc_co_u32_e32 v1, vcc, v38, v1, vcc
	v_mov_b32_e32 v2, v24
	global_store_dwordx2 v[0:1], v[31:32], off
	v_lshlrev_b64 v[0:1], 3, v[4:5]
	v_mad_u64_u32 v[4:5], s[2:3], s21, v6, v[2:3]
	v_add_co_u32_e32 v0, vcc, v37, v0
	v_addc_co_u32_e32 v1, vcc, v38, v1, vcc
	v_add_u32_e32 v6, 0x3c0, v6
	global_store_dwordx2 v[0:1], v[9:10], off
	v_mov_b32_e32 v24, v4
	v_mad_u64_u32 v[4:5], s[2:3], s20, v6, 0
	v_add_u32_e32 v9, 0xf0, v3
	v_mul_hi_u32 v10, v9, s0
	v_mov_b32_e32 v2, v5
	v_mad_u64_u32 v[5:6], s[2:3], s21, v6, v[2:3]
	v_lshrrev_b32_e32 v2, 9, v10
	v_mul_u32_u24_e32 v6, 0x3c0, v2
	v_sub_u32_e32 v6, v9, v6
	v_mad_u32_u24 v6, v2, s1, v6
	v_mad_u64_u32 v[9:10], s[2:3], s20, v6, 0
	v_lshlrev_b64 v[0:1], 3, v[23:24]
	v_fma_f32 v11, v11, 2.0, -v13
	v_add_co_u32_e32 v0, vcc, v37, v0
	v_addc_co_u32_e32 v1, vcc, v38, v1, vcc
	v_mov_b32_e32 v2, v10
	global_store_dwordx2 v[0:1], v[39:40], off
	v_lshlrev_b64 v[0:1], 3, v[4:5]
	v_mad_u64_u32 v[4:5], s[2:3], s21, v6, v[2:3]
	v_add_co_u32_e32 v0, vcc, v37, v0
	v_addc_co_u32_e32 v1, vcc, v38, v1, vcc
	v_mov_b32_e32 v10, v4
	v_add_u32_e32 v6, 0x3c0, v6
	global_store_dwordx2 v[0:1], v[25:26], off
	v_lshlrev_b64 v[0:1], 3, v[9:10]
	v_mad_u64_u32 v[4:5], s[2:3], s20, v6, 0
	v_add_u32_e32 v9, 0x168, v3
	v_mul_hi_u32 v10, v9, s0
	v_mov_b32_e32 v2, v5
	v_mad_u64_u32 v[5:6], s[2:3], s21, v6, v[2:3]
	v_lshrrev_b32_e32 v2, 9, v10
	v_mul_u32_u24_e32 v6, 0x3c0, v2
	v_sub_u32_e32 v6, v9, v6
	v_mad_u32_u24 v6, v2, s1, v6
	v_mad_u64_u32 v[9:10], s[2:3], s20, v6, 0
	v_add_co_u32_e32 v0, vcc, v37, v0
	v_addc_co_u32_e32 v1, vcc, v38, v1, vcc
	v_mov_b32_e32 v2, v10
	global_store_dwordx2 v[0:1], v[11:12], off
	v_lshlrev_b64 v[0:1], 3, v[4:5]
	v_mad_u64_u32 v[4:5], s[2:3], s21, v6, v[2:3]
	v_add_co_u32_e32 v0, vcc, v37, v0
	v_addc_co_u32_e32 v1, vcc, v38, v1, vcc
	v_mov_b32_e32 v10, v4
	v_add_u32_e32 v6, 0x3c0, v6
	global_store_dwordx2 v[0:1], v[13:14], off
	v_lshlrev_b64 v[0:1], 3, v[9:10]
	v_mad_u64_u32 v[4:5], s[2:3], s20, v6, 0
	v_add_u32_e32 v9, 0x1e0, v3
	v_mul_hi_u32 v10, v9, s0
	v_mov_b32_e32 v2, v5
	v_mad_u64_u32 v[5:6], s[2:3], s21, v6, v[2:3]
	v_lshrrev_b32_e32 v2, 9, v10
	v_mul_u32_u24_e32 v6, 0x3c0, v2
	v_sub_u32_e32 v6, v9, v6
	v_mad_u32_u24 v6, v2, s1, v6
	v_mad_u64_u32 v[9:10], s[2:3], s20, v6, 0
	;; [unrolled: 22-line block ×3, first 2 shown]
	v_add_co_u32_e32 v0, vcc, v37, v0
	v_fma_f32 v15, v15, 2.0, -v17
	v_addc_co_u32_e32 v1, vcc, v38, v1, vcc
	v_mov_b32_e32 v2, v10
	global_store_dwordx2 v[0:1], v[15:16], off
	v_lshlrev_b64 v[0:1], 3, v[4:5]
	v_mad_u64_u32 v[4:5], s[2:3], s21, v6, v[2:3]
	v_add_co_u32_e32 v0, vcc, v37, v0
	v_addc_co_u32_e32 v1, vcc, v38, v1, vcc
	v_mov_b32_e32 v10, v4
	v_add_u32_e32 v6, 0x3c0, v6
	global_store_dwordx2 v[0:1], v[17:18], off
	v_lshlrev_b64 v[0:1], 3, v[9:10]
	v_mad_u64_u32 v[4:5], s[2:3], s20, v6, 0
	v_add_u32_e32 v9, 0x2d0, v3
	v_mul_hi_u32 v10, v9, s0
	v_mov_b32_e32 v2, v5
	v_mad_u64_u32 v[5:6], s[2:3], s21, v6, v[2:3]
	v_lshrrev_b32_e32 v2, 9, v10
	v_mul_u32_u24_e32 v6, 0x3c0, v2
	v_sub_u32_e32 v6, v9, v6
	v_mad_u32_u24 v6, v2, s1, v6
	v_mad_u64_u32 v[9:10], s[2:3], s20, v6, 0
	v_add_co_u32_e32 v0, vcc, v37, v0
	v_addc_co_u32_e32 v1, vcc, v38, v1, vcc
	v_mov_b32_e32 v2, v10
	global_store_dwordx2 v[0:1], v[35:36], off
	v_lshlrev_b64 v[0:1], 3, v[4:5]
	v_mad_u64_u32 v[4:5], s[2:3], s21, v6, v[2:3]
	v_add_u32_e32 v6, 0x3c0, v6
	v_add_co_u32_e32 v0, vcc, v37, v0
	v_mov_b32_e32 v10, v4
	v_mad_u64_u32 v[4:5], s[2:3], s20, v6, 0
	v_addc_co_u32_e32 v1, vcc, v38, v1, vcc
	v_mov_b32_e32 v2, v5
	v_mad_u64_u32 v[5:6], s[2:3], s21, v6, v[2:3]
	v_add_u32_e32 v2, 0x348, v3
	v_mul_hi_u32 v3, v2, s0
	global_store_dwordx2 v[0:1], v[7:8], off
	v_lshlrev_b64 v[0:1], 3, v[9:10]
	v_add_co_u32_e32 v0, vcc, v37, v0
	v_addc_co_u32_e32 v1, vcc, v38, v1, vcc
	v_lshrrev_b32_e32 v3, 9, v3
	global_store_dwordx2 v[0:1], v[19:20], off
	v_lshlrev_b64 v[0:1], 3, v[4:5]
	v_mul_u32_u24_e32 v4, 0x3c0, v3
	v_sub_u32_e32 v2, v2, v4
	v_mad_u32_u24 v5, v3, s1, v2
	v_mad_u64_u32 v[2:3], s[0:1], s20, v5, 0
	v_add_u32_e32 v6, 0x3c0, v5
	v_add_co_u32_e32 v0, vcc, v37, v0
	v_mad_u64_u32 v[3:4], s[0:1], s21, v5, v[3:4]
	v_mad_u64_u32 v[4:5], s[0:1], s20, v6, 0
	v_addc_co_u32_e32 v1, vcc, v38, v1, vcc
	global_store_dwordx2 v[0:1], v[29:30], off
	v_lshlrev_b64 v[0:1], 3, v[2:3]
	v_mov_b32_e32 v2, v5
	v_mad_u64_u32 v[2:3], s[0:1], s21, v6, v[2:3]
	v_add_co_u32_e32 v0, vcc, v37, v0
	v_addc_co_u32_e32 v1, vcc, v38, v1, vcc
	v_mov_b32_e32 v5, v2
	global_store_dwordx2 v[0:1], v[33:34], off
	v_lshlrev_b64 v[0:1], 3, v[4:5]
	v_add_co_u32_e32 v0, vcc, v37, v0
	v_addc_co_u32_e32 v1, vcc, v38, v1, vcc
	global_store_dwordx2 v[0:1], v[21:22], off
.LBB0_29:
	s_endpgm
	.section	.rodata,"a",@progbits
	.p2align	6, 0x0
	.amdhsa_kernel fft_rtc_fwd_len1920_factors_10_6_16_2_wgs_240_tpt_120_halfLds_sp_op_CI_CI_sbrr_dirReg
		.amdhsa_group_segment_fixed_size 0
		.amdhsa_private_segment_fixed_size 0
		.amdhsa_kernarg_size 104
		.amdhsa_user_sgpr_count 6
		.amdhsa_user_sgpr_private_segment_buffer 1
		.amdhsa_user_sgpr_dispatch_ptr 0
		.amdhsa_user_sgpr_queue_ptr 0
		.amdhsa_user_sgpr_kernarg_segment_ptr 1
		.amdhsa_user_sgpr_dispatch_id 0
		.amdhsa_user_sgpr_flat_scratch_init 0
		.amdhsa_user_sgpr_private_segment_size 0
		.amdhsa_uses_dynamic_stack 0
		.amdhsa_system_sgpr_private_segment_wavefront_offset 0
		.amdhsa_system_sgpr_workgroup_id_x 1
		.amdhsa_system_sgpr_workgroup_id_y 0
		.amdhsa_system_sgpr_workgroup_id_z 0
		.amdhsa_system_sgpr_workgroup_info 0
		.amdhsa_system_vgpr_workitem_id 0
		.amdhsa_next_free_vgpr 82
		.amdhsa_next_free_sgpr 32
		.amdhsa_reserve_vcc 1
		.amdhsa_reserve_flat_scratch 0
		.amdhsa_float_round_mode_32 0
		.amdhsa_float_round_mode_16_64 0
		.amdhsa_float_denorm_mode_32 3
		.amdhsa_float_denorm_mode_16_64 3
		.amdhsa_dx10_clamp 1
		.amdhsa_ieee_mode 1
		.amdhsa_fp16_overflow 0
		.amdhsa_exception_fp_ieee_invalid_op 0
		.amdhsa_exception_fp_denorm_src 0
		.amdhsa_exception_fp_ieee_div_zero 0
		.amdhsa_exception_fp_ieee_overflow 0
		.amdhsa_exception_fp_ieee_underflow 0
		.amdhsa_exception_fp_ieee_inexact 0
		.amdhsa_exception_int_div_zero 0
	.end_amdhsa_kernel
	.text
.Lfunc_end0:
	.size	fft_rtc_fwd_len1920_factors_10_6_16_2_wgs_240_tpt_120_halfLds_sp_op_CI_CI_sbrr_dirReg, .Lfunc_end0-fft_rtc_fwd_len1920_factors_10_6_16_2_wgs_240_tpt_120_halfLds_sp_op_CI_CI_sbrr_dirReg
                                        ; -- End function
	.section	.AMDGPU.csdata,"",@progbits
; Kernel info:
; codeLenInByte = 10584
; NumSgprs: 36
; NumVgprs: 82
; ScratchSize: 0
; MemoryBound: 0
; FloatMode: 240
; IeeeMode: 1
; LDSByteSize: 0 bytes/workgroup (compile time only)
; SGPRBlocks: 4
; VGPRBlocks: 20
; NumSGPRsForWavesPerEU: 36
; NumVGPRsForWavesPerEU: 82
; Occupancy: 3
; WaveLimiterHint : 1
; COMPUTE_PGM_RSRC2:SCRATCH_EN: 0
; COMPUTE_PGM_RSRC2:USER_SGPR: 6
; COMPUTE_PGM_RSRC2:TRAP_HANDLER: 0
; COMPUTE_PGM_RSRC2:TGID_X_EN: 1
; COMPUTE_PGM_RSRC2:TGID_Y_EN: 0
; COMPUTE_PGM_RSRC2:TGID_Z_EN: 0
; COMPUTE_PGM_RSRC2:TIDIG_COMP_CNT: 0
	.type	__hip_cuid_5e2e8dee88e51a1a,@object ; @__hip_cuid_5e2e8dee88e51a1a
	.section	.bss,"aw",@nobits
	.globl	__hip_cuid_5e2e8dee88e51a1a
__hip_cuid_5e2e8dee88e51a1a:
	.byte	0                               ; 0x0
	.size	__hip_cuid_5e2e8dee88e51a1a, 1

	.ident	"AMD clang version 19.0.0git (https://github.com/RadeonOpenCompute/llvm-project roc-6.4.0 25133 c7fe45cf4b819c5991fe208aaa96edf142730f1d)"
	.section	".note.GNU-stack","",@progbits
	.addrsig
	.addrsig_sym __hip_cuid_5e2e8dee88e51a1a
	.amdgpu_metadata
---
amdhsa.kernels:
  - .args:
      - .actual_access:  read_only
        .address_space:  global
        .offset:         0
        .size:           8
        .value_kind:     global_buffer
      - .offset:         8
        .size:           8
        .value_kind:     by_value
      - .actual_access:  read_only
        .address_space:  global
        .offset:         16
        .size:           8
        .value_kind:     global_buffer
      - .actual_access:  read_only
        .address_space:  global
        .offset:         24
        .size:           8
        .value_kind:     global_buffer
      - .actual_access:  read_only
        .address_space:  global
        .offset:         32
        .size:           8
        .value_kind:     global_buffer
      - .offset:         40
        .size:           8
        .value_kind:     by_value
      - .actual_access:  read_only
        .address_space:  global
        .offset:         48
        .size:           8
        .value_kind:     global_buffer
      - .actual_access:  read_only
        .address_space:  global
        .offset:         56
        .size:           8
        .value_kind:     global_buffer
      - .offset:         64
        .size:           4
        .value_kind:     by_value
      - .actual_access:  read_only
        .address_space:  global
        .offset:         72
        .size:           8
        .value_kind:     global_buffer
      - .actual_access:  read_only
        .address_space:  global
        .offset:         80
        .size:           8
        .value_kind:     global_buffer
      - .actual_access:  read_only
        .address_space:  global
        .offset:         88
        .size:           8
        .value_kind:     global_buffer
      - .actual_access:  write_only
        .address_space:  global
        .offset:         96
        .size:           8
        .value_kind:     global_buffer
    .group_segment_fixed_size: 0
    .kernarg_segment_align: 8
    .kernarg_segment_size: 104
    .language:       OpenCL C
    .language_version:
      - 2
      - 0
    .max_flat_workgroup_size: 240
    .name:           fft_rtc_fwd_len1920_factors_10_6_16_2_wgs_240_tpt_120_halfLds_sp_op_CI_CI_sbrr_dirReg
    .private_segment_fixed_size: 0
    .sgpr_count:     36
    .sgpr_spill_count: 0
    .symbol:         fft_rtc_fwd_len1920_factors_10_6_16_2_wgs_240_tpt_120_halfLds_sp_op_CI_CI_sbrr_dirReg.kd
    .uniform_work_group_size: 1
    .uses_dynamic_stack: false
    .vgpr_count:     82
    .vgpr_spill_count: 0
    .wavefront_size: 64
amdhsa.target:   amdgcn-amd-amdhsa--gfx906
amdhsa.version:
  - 1
  - 2
...

	.end_amdgpu_metadata
